;; amdgpu-corpus repo=ROCm/rocFFT kind=compiled arch=gfx90a opt=O3
	.text
	.amdgcn_target "amdgcn-amd-amdhsa--gfx90a"
	.amdhsa_code_object_version 6
	.protected	bluestein_single_back_len595_dim1_sp_op_CI_CI ; -- Begin function bluestein_single_back_len595_dim1_sp_op_CI_CI
	.globl	bluestein_single_back_len595_dim1_sp_op_CI_CI
	.p2align	8
	.type	bluestein_single_back_len595_dim1_sp_op_CI_CI,@function
bluestein_single_back_len595_dim1_sp_op_CI_CI: ; @bluestein_single_back_len595_dim1_sp_op_CI_CI
; %bb.0:
	s_load_dwordx4 s[16:19], s[4:5], 0x28
	v_mul_u32_u24_e32 v1, 0xf10, v0
	s_mov_b64 s[78:79], s[2:3]
	v_lshrrev_b32_e32 v2, 16, v1
	s_mov_b64 s[76:77], s[0:1]
	v_mad_u64_u32 v[14:15], s[0:1], s6, 3, v[2:3]
	s_add_u32 s76, s76, s7
	v_mov_b32_e32 v15, 0
	s_addc_u32 s77, s77, 0
	s_waitcnt lgkmcnt(0)
	v_cmp_gt_u64_e32 vcc, s[16:17], v[14:15]
	s_and_saveexec_b64 s[0:1], vcc
	s_cbranch_execz .LBB0_10
; %bb.1:
	s_load_dwordx4 s[12:15], s[4:5], 0x18
	v_mul_lo_u16_e32 v1, 17, v2
	v_sub_u16_e32 v96, v0, v1
	v_lshlrev_b32_e32 v11, 3, v96
	v_mov_b32_e32 v8, 0x2a8
	s_waitcnt lgkmcnt(0)
	s_load_dwordx4 s[8:11], s[12:13], 0x0
	s_load_dwordx4 s[0:3], s[4:5], 0x0
	v_accvgpr_write_b32 a42, v14
	v_mov_b32_e32 v12, 0xfffff098
	s_mov_b32 s16, 0x3eae86e6
	s_waitcnt lgkmcnt(0)
	v_mad_u64_u32 v[0:1], s[6:7], s10, v14, 0
	v_mov_b32_e32 v4, v1
	v_mad_u64_u32 v[2:3], s[6:7], s8, v96, 0
	v_mad_u64_u32 v[4:5], s[6:7], s11, v14, v[4:5]
	v_mov_b32_e32 v6, v3
	v_mov_b32_e32 v1, v4
	v_mad_u64_u32 v[4:5], s[6:7], s9, v96, v[6:7]
	v_lshlrev_b64 v[0:1], 3, v[0:1]
	v_mov_b32_e32 v3, v4
	v_mov_b32_e32 v4, s19
	v_add_co_u32_e32 v9, vcc, s18, v0
	v_addc_co_u32_e32 v10, vcc, v4, v1, vcc
	v_lshlrev_b64 v[0:1], 3, v[2:3]
	v_add_co_u32_e32 v2, vcc, v9, v0
	v_addc_co_u32_e32 v3, vcc, v10, v1, vcc
	global_load_dwordx2 v[0:1], v[2:3], off
	global_load_dwordx2 v[26:27], v11, s[0:1]
	v_mad_u64_u32 v[2:3], s[6:7], s8, v8, v[2:3]
	s_mul_i32 s12, s9, 0x2a8
	v_add_u32_e32 v3, s12, v3
	global_load_dwordx2 v[24:25], v11, s[0:1] offset:680
	global_load_dwordx2 v[4:5], v[2:3], off
	v_mad_u64_u32 v[6:7], s[6:7], s8, v8, v[2:3]
	v_add_u32_e32 v7, s12, v7
	global_load_dwordx2 v[2:3], v[6:7], off
	global_load_dwordx2 v[38:39], v11, s[0:1] offset:1360
	s_load_dwordx2 s[10:11], s[4:5], 0x38
	s_mov_b32 s4, 0xaaaaaaab
	v_mul_hi_u32 v13, v14, s4
	v_lshrrev_b32_e32 v13, 1, v13
	v_lshl_add_u32 v13, v13, 1, v13
	s_load_dwordx4 s[4:7], s[14:15], 0x0
	v_mad_u64_u32 v[6:7], s[14:15], s8, v8, v[6:7]
	v_sub_u32_e32 v13, v14, v13
	v_mov_b32_e32 v14, s1
	v_add_co_u32_e32 v36, vcc, s0, v11
	v_add_u32_e32 v7, s12, v7
	global_load_dwordx2 v[58:59], v11, s[0:1] offset:2040
	global_load_dwordx2 v[60:61], v11, s[0:1] offset:3400
	;; [unrolled: 1-line block ×12, first 2 shown]
	v_addc_co_u32_e32 v37, vcc, 0, v14, vcc
	global_load_dwordx2 v[14:15], v[6:7], off
	v_mad_u64_u32 v[6:7], s[14:15], s8, v8, v[6:7]
	v_add_u32_e32 v7, s12, v7
	global_load_dwordx2 v[16:17], v[6:7], off
	global_load_dwordx2 v[68:69], v11, s[0:1] offset:2720
	v_mad_u64_u32 v[6:7], s[14:15], s8, v8, v[6:7]
	v_add_u32_e32 v7, s12, v7
	global_load_dwordx2 v[18:19], v[6:7], off
	v_mad_u64_u32 v[6:7], s[14:15], s8, v8, v[6:7]
	v_mul_u32_u24_e32 v13, 0x253, v13
	s_mul_i32 s13, s9, 0xfffff098
	v_add_u32_e32 v7, s12, v7
	v_lshlrev_b32_e32 v97, 3, v13
	s_sub_i32 s13, s13, s8
	global_load_dwordx2 v[20:21], v[6:7], off
	v_mad_u64_u32 v[6:7], s[14:15], s8, v12, v[6:7]
	v_add_u32_e32 v7, s13, v7
	v_add_u32_e32 v94, v11, v97
	s_mov_b32 s17, 0xbf08b237
	s_mov_b32 s24, s17
	;; [unrolled: 1-line block ×5, first 2 shown]
	v_accvgpr_write_b32 a215, v94
	v_accvgpr_write_b32 a32, v96
                                        ; implicit-def: $vgpr166
                                        ; implicit-def: $vgpr176
                                        ; implicit-def: $vgpr174
                                        ; implicit-def: $vgpr172
                                        ; implicit-def: $vgpr170
                                        ; implicit-def: $vgpr168
                                        ; implicit-def: $vgpr162
                                        ; implicit-def: $vgpr164
                                        ; implicit-def: $vgpr178
                                        ; implicit-def: $vgpr180
                                        ; implicit-def: $vgpr182
	s_waitcnt vmcnt(21)
	v_accvgpr_write_b32 a47, v27
	v_mul_f32_e32 v22, v1, v27
	v_mul_f32_e32 v13, v0, v27
	v_fmac_f32_e32 v22, v0, v26
	v_fma_f32 v23, v1, v26, -v13
	s_waitcnt vmcnt(19)
	v_mul_f32_e32 v0, v5, v25
	v_mul_f32_e32 v1, v4, v25
	v_fmac_f32_e32 v0, v4, v24
	buffer_store_dword v24, off, s[76:79], 0 offset:244 ; 4-byte Folded Spill
	v_fma_f32 v1, v5, v24, -v1
	global_load_dwordx2 v[4:5], v[6:7], off
	v_mad_u64_u32 v[6:7], s[14:15], s8, v8, v[6:7]
	v_add_u32_e32 v7, s12, v7
	v_accvgpr_write_b32 a219, v25           ;  Reload Reuse
	global_load_dwordx2 v[24:25], v[6:7], off
	v_mad_u64_u32 v[6:7], s[14:15], s8, v8, v[6:7]
	v_add_u32_e32 v7, s12, v7
	v_accvgpr_write_b32 a46, v26
	global_load_dwordx2 v[26:27], v[6:7], off
	v_mad_u64_u32 v[6:7], s[14:15], s8, v8, v[6:7]
	ds_write_b64 v94, v[0:1] offset:680
	v_add_u32_e32 v7, s12, v7
	global_load_dwordx2 v[28:29], v[6:7], off
	global_load_dwordx2 v[88:89], v11, s[0:1] offset:2176
	v_mad_u64_u32 v[6:7], s[14:15], s8, v8, v[6:7]
	v_add_u32_e32 v7, s12, v7
	global_load_dwordx2 v[30:31], v[6:7], off
	global_load_dwordx2 v[86:87], v11, s[0:1] offset:2856
	v_mad_u64_u32 v[6:7], s[14:15], s8, v8, v[6:7]
	v_add_u32_e32 v7, s12, v7
	s_waitcnt vmcnt(25)
	v_mul_f32_e32 v0, v3, v39
	v_mul_f32_e32 v1, v2, v39
	global_load_dwordx2 v[32:33], v[6:7], off
	global_load_dwordx2 v[84:85], v11, s[0:1] offset:3536
	v_mad_u64_u32 v[6:7], s[14:15], s8, v8, v[6:7]
	v_fmac_f32_e32 v0, v2, v38
	v_add_u32_e32 v7, s12, v7
	s_movk_i32 s14, 0x1000
	v_fma_f32 v1, v3, v38, -v1
	v_add_co_u32_e32 v36, vcc, s14, v36
	ds_write_b64 v94, v[0:1] offset:1360
	v_mad_u64_u32 v[0:1], s[14:15], s8, v12, v[6:7]
	v_add_u32_e32 v1, s13, v1
	global_load_dwordx2 v[2:3], v[0:1], off
	v_mad_u64_u32 v[0:1], s[14:15], s8, v8, v[0:1]
	v_add_u32_e32 v1, s12, v1
	global_load_dwordx2 v[34:35], v[6:7], off
	s_waitcnt vmcnt(16)
	v_mul_f32_e32 v40, v15, v59
	global_load_dwordx2 v[6:7], v[0:1], off
	v_mad_u64_u32 v[0:1], s[14:15], s8, v8, v[0:1]
	v_mul_f32_e32 v13, v14, v59
	v_addc_co_u32_e32 v37, vcc, 0, v37, vcc
	v_accvgpr_write_b32 a28, v38
	v_add_u32_e32 v1, s12, v1
	v_fmac_f32_e32 v40, v14, v58
	v_fma_f32 v41, v15, v58, -v13
	global_load_dwordx2 v[82:83], v[36:37], off offset:120
	v_accvgpr_write_b32 a29, v39
	global_load_dwordx2 v[38:39], v[0:1], off
	global_load_dwordx2 v[80:81], v11, s[0:1] offset:1632
	global_load_dwordx2 v[70:71], v11, s[0:1] offset:1768
	;; [unrolled: 1-line block ×3, first 2 shown]
	ds_write_b64 v94, v[40:41] offset:2040
	s_waitcnt vmcnt(20)
	v_mul_f32_e32 v14, v17, v69
	global_load_dwordx2 v[78:79], v11, s[0:1] offset:2992
	global_load_dwordx2 v[66:67], v11, s[0:1] offset:3128
	v_fmac_f32_e32 v14, v16, v68
	v_mul_f32_e32 v13, v16, v69
	buffer_store_dword v68, off, s[76:79], 0 offset:228 ; 4-byte Folded Spill
	s_nop 0
	buffer_store_dword v69, off, s[76:79], 0 offset:232 ; 4-byte Folded Spill
	v_accvgpr_write_b32 a50, v58
	v_accvgpr_write_b32 a51, v59
	v_mad_u64_u32 v[0:1], s[14:15], s8, v8, v[0:1]
	v_add_u32_e32 v1, s12, v1
	v_add_co_u32_e32 v102, vcc, 17, v96
	v_add_co_u32_e32 v103, vcc, 34, v96
	s_waitcnt vmcnt(16)
	v_mul_f32_e32 v16, v29, v89
	v_fmac_f32_e32 v16, v28, v88
	v_fma_f32 v15, v17, v68, -v13
	ds_write_b64 v94, v[14:15] offset:2720
	v_mul_f32_e32 v14, v19, v61
	global_load_dwordx2 v[76:77], v11, s[0:1] offset:3672
	global_load_dwordx2 v[58:59], v11, s[0:1] offset:3264
	v_fmac_f32_e32 v14, v18, v60
	v_mul_f32_e32 v13, v18, v61
	buffer_store_dword v60, off, s[76:79], 0 offset:252 ; 4-byte Folded Spill
	s_nop 0
	buffer_store_dword v61, off, s[76:79], 0 offset:256 ; 4-byte Folded Spill
	s_waitcnt vmcnt(18)
	v_mul_f32_e32 v18, v31, v87
	v_fmac_f32_e32 v18, v30, v86
	v_fma_f32 v15, v19, v60, -v13
	ds_write_b64 v94, v[14:15] offset:3400
	v_mul_f32_e32 v14, v21, v65
	global_load_dwordx2 v[68:69], v11, s[0:1] offset:3808
	global_load_dwordx2 v[60:61], v11, s[0:1] offset:3944
	v_fmac_f32_e32 v14, v20, v64
	v_mul_f32_e32 v13, v20, v65
	buffer_store_dword v64, off, s[76:79], 0 offset:236 ; 4-byte Folded Spill
	s_nop 0
	buffer_store_dword v65, off, s[76:79], 0 offset:240 ; 4-byte Folded Spill
	s_waitcnt vmcnt(20)
	v_mul_f32_e32 v20, v33, v85
	v_fmac_f32_e32 v20, v32, v84
	v_fma_f32 v15, v21, v64, -v13
	ds_write_b64 v94, v[14:15] offset:4080
	v_mul_f32_e32 v14, v5, v73
	v_fmac_f32_e32 v14, v4, v72
	v_mul_f32_e32 v4, v4, v73
	buffer_store_dword v72, off, s[76:79], 0 offset:220 ; 4-byte Folded Spill
	s_nop 0
	buffer_store_dword v73, off, s[76:79], 0 offset:224 ; 4-byte Folded Spill
	v_mul_f32_e32 v13, v26, v47
	v_fma_f32 v15, v5, v72, -v4
	ds_write2_b64 v94, v[22:23], v[14:15] offset1:17
	v_mul_f32_e32 v4, v25, v63
	v_mul_f32_e32 v14, v27, v47
	v_fmac_f32_e32 v4, v24, v62
	v_mul_f32_e32 v5, v24, v63
	buffer_store_dword v62, off, s[76:79], 0 offset:212 ; 4-byte Folded Spill
	s_nop 0
	buffer_store_dword v63, off, s[76:79], 0 offset:216 ; 4-byte Folded Spill
	v_fmac_f32_e32 v14, v26, v46
	buffer_store_dword v46, off, s[76:79], 0 offset:204 ; 4-byte Folded Spill
	s_nop 0
	buffer_store_dword v47, off, s[76:79], 0 offset:208 ; 4-byte Folded Spill
	s_waitcnt vmcnt(22)
	v_mul_f32_e32 v24, v35, v83
	v_mul_f32_e32 v26, v3, v45
	v_fmac_f32_e32 v24, v34, v82
	v_fmac_f32_e32 v26, v2, v44
	v_mul_f32_e32 v2, v2, v45
	v_fma_f32 v5, v25, v62, -v5
	v_fma_f32 v15, v27, v46, -v13
	global_load_dwordx2 v[46:47], v11, s[0:1] offset:2312
	global_load_dwordx2 v[74:75], v11, s[0:1] offset:2448
	global_load_dwordx2 v[64:65], v11, s[0:1] offset:2584
	v_mul_f32_e32 v11, v28, v89
	buffer_store_dword v88, off, s[76:79], 0 offset:196 ; 4-byte Folded Spill
	s_nop 0
	buffer_store_dword v89, off, s[76:79], 0 offset:200 ; 4-byte Folded Spill
	v_fma_f32 v17, v29, v88, -v11
	v_mul_f32_e32 v11, v30, v87
	buffer_store_dword v86, off, s[76:79], 0 offset:188 ; 4-byte Folded Spill
	s_nop 0
	buffer_store_dword v87, off, s[76:79], 0 offset:192 ; 4-byte Folded Spill
	global_load_dwordx2 v[22:23], v[0:1], off
	v_mad_u64_u32 v[0:1], s[14:15], s8, v8, v[0:1]
	v_add_u32_e32 v1, s12, v1
	v_fma_f32 v19, v31, v86, -v11
	v_mul_f32_e32 v11, v32, v85
	buffer_store_dword v84, off, s[76:79], 0 offset:172 ; 4-byte Folded Spill
	s_nop 0
	buffer_store_dword v85, off, s[76:79], 0 offset:176 ; 4-byte Folded Spill
	global_load_dwordx2 v[72:73], v[36:37], off offset:392
	global_load_dwordx2 v[62:63], v[36:37], off offset:528
	v_add_u32_e32 v32, 0x800, v94
	v_fma_f32 v21, v33, v84, -v11
	v_mul_f32_e32 v11, v34, v83
	buffer_store_dword v82, off, s[76:79], 0 offset:180 ; 4-byte Folded Spill
	s_nop 0
	buffer_store_dword v83, off, s[76:79], 0 offset:184 ; 4-byte Folded Spill
	buffer_store_dword v44, off, s[76:79], 0 offset:148 ; 4-byte Folded Spill
	s_nop 0
	buffer_store_dword v45, off, s[76:79], 0 offset:152 ; 4-byte Folded Spill
	v_add_u32_e32 v33, 0x1000, v94
	v_fma_f32 v25, v35, v82, -v11
	v_fma_f32 v27, v3, v44, -v2
	v_mul_f32_e32 v2, v7, v43
	v_fmac_f32_e32 v2, v6, v42
	v_mul_f32_e32 v3, v6, v43
	buffer_store_dword v42, off, s[76:79], 0 offset:132 ; 4-byte Folded Spill
	s_nop 0
	buffer_store_dword v43, off, s[76:79], 0 offset:136 ; 4-byte Folded Spill
	v_fma_f32 v3, v7, v42, -v3
	ds_write2_b64 v94, v[4:5], v[2:3] offset0:102 offset1:119
	v_or_b32_e32 v3, 0x220, v96
	v_mad_u64_u32 v[28:29], s[14:15], s8, v3, 0
	v_mov_b32_e32 v30, v29
	v_mad_u64_u32 v[30:31], s[14:15], s9, v3, v[30:31]
	global_load_dwordx2 v[4:5], v[0:1], off
	v_mad_u64_u32 v[0:1], s[14:15], s8, v8, v[0:1]
	v_mov_b32_e32 v29, v30
	v_accvgpr_write_b32 a1, v3
	v_lshlrev_b32_e32 v3, 3, v3
	v_add_u32_e32 v1, s12, v1
	v_lshlrev_b64 v[28:29], 3, v[28:29]
	v_accvgpr_write_b32 a211, v3
	global_load_dwordx2 v[82:83], v3, s[0:1]
	v_mov_b32_e32 v3, 0xfffff340
	s_mulk_i32 s9, 0xf340
	global_load_dwordx2 v[6:7], v[0:1], off
	v_add_co_u32_e32 v28, vcc, v9, v28
	v_mad_u64_u32 v[0:1], s[14:15], s8, v3, v[0:1]
	s_sub_i32 s9, s9, s8
	v_addc_co_u32_e32 v29, vcc, v10, v29, vcc
	v_add_u32_e32 v1, s9, v1
	global_load_dwordx2 v[10:11], v[28:29], off
	s_waitcnt vmcnt(42)
	v_mul_f32_e32 v2, v39, v81
	global_load_dwordx2 v[28:29], v[0:1], off
	v_mad_u64_u32 v[0:1], s[14:15], s8, v8, v[0:1]
	v_add_u32_e32 v1, s12, v1
	global_load_dwordx2 v[30:31], v[0:1], off
	v_mad_u64_u32 v[0:1], s[14:15], s8, v8, v[0:1]
	v_add_u32_e32 v1, s12, v1
	;; [unrolled: 3-line block ×6, first 2 shown]
	v_fmac_f32_e32 v2, v38, v80
	v_mul_f32_e32 v3, v38, v81
	global_load_dwordx2 v[44:45], v[0:1], off
	s_nop 0
	buffer_store_dword v80, off, s[76:79], 0 offset:164 ; 4-byte Folded Spill
	s_nop 0
	buffer_store_dword v81, off, s[76:79], 0 offset:168 ; 4-byte Folded Spill
	v_mad_u64_u32 v[0:1], s[14:15], s8, v12, v[0:1]
	v_add_u32_e32 v1, s13, v1
	global_load_dwordx2 v[12:13], v[0:1], off
	v_mad_u64_u32 v[0:1], s[14:15], s8, v8, v[0:1]
	v_add_u32_e32 v1, s12, v1
	s_waitcnt vmcnt(6)
	v_mul_f32_e32 v9, v36, v75
	v_fma_f32 v3, v39, v80, -v3
	ds_write2_b64 v94, v[14:15], v[2:3] offset0:187 offset1:204
	global_load_dwordx2 v[14:15], v[0:1], off
	v_mad_u64_u32 v[0:1], s[14:15], s8, v8, v[0:1]
	v_mul_f32_e32 v2, v23, v47
	v_add_u32_e32 v1, s12, v1
	v_fmac_f32_e32 v2, v22, v46
	v_mul_f32_e32 v3, v22, v47
	global_load_dwordx2 v[38:39], v[0:1], off
	s_nop 0
	buffer_store_dword v46, off, s[76:79], 0 offset:156 ; 4-byte Folded Spill
	s_nop 0
	buffer_store_dword v47, off, s[76:79], 0 offset:160 ; 4-byte Folded Spill
	v_mad_u64_u32 v[0:1], s[14:15], s8, v8, v[0:1]
	v_add_u32_e32 v1, s12, v1
	v_fma_f32 v3, v23, v46, -v3
	global_load_dwordx2 v[22:23], v[0:1], off
	v_mad_u64_u32 v[0:1], s[14:15], s8, v8, v[0:1]
	v_add_u32_e32 v1, s12, v1
	global_load_dwordx2 v[46:47], v[0:1], off
	v_mad_u64_u32 v[0:1], s[14:15], s8, v8, v[0:1]
	v_add_u32_e32 v1, s12, v1
	ds_write2_b64 v32, v[16:17], v[2:3] offset0:16 offset1:33
	global_load_dwordx2 v[2:3], v[0:1], off
	v_mad_u64_u32 v[0:1], s[8:9], s8, v8, v[0:1]
	v_mul_f32_e32 v16, v5, v79
	v_add_u32_e32 v1, s12, v1
	global_load_dwordx2 v[0:1], v[0:1], off
	v_fmac_f32_e32 v16, v4, v78
	v_mul_f32_e32 v4, v4, v79
	buffer_store_dword v78, off, s[76:79], 0 offset:140 ; 4-byte Folded Spill
	s_nop 0
	buffer_store_dword v79, off, s[76:79], 0 offset:144 ; 4-byte Folded Spill
	v_mul_f32_e32 v8, v37, v75
	v_fmac_f32_e32 v8, v36, v74
	s_mov_b32 s12, 0x3d64c772
	s_movk_i32 s8, 0x44
	s_mov_b32 s13, 0x3f4a47b2
	s_mov_b32 s14, 0x3f955555
	;; [unrolled: 1-line block ×4, first 2 shown]
	v_fma_f32 v17, v5, v78, -v4
	v_mul_f32_e32 v4, v7, v77
	ds_write2_b64 v32, v[18:19], v[16:17] offset0:101 offset1:118
	v_fmac_f32_e32 v4, v6, v76
	v_mul_f32_e32 v5, v6, v77
	buffer_store_dword v76, off, s[76:79], 0 offset:124 ; 4-byte Folded Spill
	s_nop 0
	buffer_store_dword v77, off, s[76:79], 0 offset:128 ; 4-byte Folded Spill
	v_mul_f32_e32 v6, v35, v71
	s_waitcnt vmcnt(16)
	v_mul_f32_e32 v16, v43, v69
	s_waitcnt vmcnt(15)
	v_mul_f32_e32 v18, v45, v73
	v_fmac_f32_e32 v6, v34, v70
	v_fmac_f32_e32 v16, v42, v68
	v_mul_f32_e32 v17, v42, v69
	v_fmac_f32_e32 v18, v44, v72
	v_mul_f32_e32 v19, v44, v73
	v_add_co_u32_e32 v77, vcc, s8, v96
	s_mov_b32 s8, 0x3ee1c552
	v_accvgpr_write_b32 a4, v77
	v_fma_f32 v5, v7, v76, -v5
	ds_write2_b64 v32, v[20:21], v[4:5] offset0:186 offset1:203
	v_mul_f32_e32 v4, v11, v83
	v_fmac_f32_e32 v4, v10, v82
	v_mul_f32_e32 v5, v10, v83
	buffer_store_dword v82, off, s[76:79], 0 offset:116 ; 4-byte Folded Spill
	s_nop 0
	buffer_store_dword v83, off, s[76:79], 0 offset:120 ; 4-byte Folded Spill
	v_mul_f32_e32 v10, v41, v67
	s_waitcnt vmcnt(14)
	v_mul_f32_e32 v20, v13, v51
	v_mul_f32_e32 v7, v34, v71
	v_fmac_f32_e32 v10, v40, v66
	v_fmac_f32_e32 v20, v12, v50
	v_mul_f32_e32 v12, v12, v51
	v_add_co_u32_e32 v76, vcc, 51, v96
	v_accvgpr_write_b32 a3, v76
	v_cmp_eq_u16_e32 vcc, 0, v96
	v_fma_f32 v5, v11, v82, -v5
	ds_write2_b64 v33, v[24:25], v[4:5] offset0:15 offset1:32
	v_mul_f32_e32 v4, v29, v55
	v_fmac_f32_e32 v4, v28, v54
	v_mul_f32_e32 v5, v28, v55
	buffer_store_dword v54, off, s[76:79], 0 offset:108 ; 4-byte Folded Spill
	s_nop 0
	buffer_store_dword v55, off, s[76:79], 0 offset:112 ; 4-byte Folded Spill
	v_mul_f32_e32 v11, v40, v67
	v_fma_f32 v5, v29, v54, -v5
	ds_write2_b64 v94, v[26:27], v[4:5] offset0:34 offset1:51
	v_mul_f32_e32 v4, v31, v53
	v_fmac_f32_e32 v4, v30, v52
	v_mul_f32_e32 v5, v30, v53
	buffer_store_dword v52, off, s[76:79], 0 offset:100 ; 4-byte Folded Spill
	s_nop 0
	buffer_store_dword v53, off, s[76:79], 0 offset:104 ; 4-byte Folded Spill
	buffer_store_dword v70, off, s[76:79], 0 offset:92 ; 4-byte Folded Spill
	s_nop 0
	buffer_store_dword v71, off, s[76:79], 0 offset:96 ; 4-byte Folded Spill
	;; [unrolled: 3-line block ×7, first 2 shown]
	v_fma_f32 v5, v31, v52, -v5
	v_fma_f32 v7, v35, v70, -v7
	;; [unrolled: 1-line block ×7, first 2 shown]
	s_waitcnt vmcnt(29)
	v_mul_f32_e32 v12, v15, v49
	ds_write_b64 v94, v[20:21] offset:544
	v_fmac_f32_e32 v12, v14, v48
	v_mul_f32_e32 v13, v14, v49
	buffer_store_dword v48, off, s[76:79], 0 offset:44 ; 4-byte Folded Spill
	s_nop 0
	buffer_store_dword v49, off, s[76:79], 0 offset:48 ; 4-byte Folded Spill
	v_fma_f32 v13, v15, v48, -v13
	ds_write2_b64 v94, v[4:5], v[12:13] offset0:136 offset1:153
	s_waitcnt vmcnt(30)
	v_mul_f32_e32 v4, v39, v57
	v_fmac_f32_e32 v4, v38, v56
	v_mul_f32_e32 v5, v38, v57
	buffer_store_dword v56, off, s[76:79], 0 offset:36 ; 4-byte Folded Spill
	s_nop 0
	buffer_store_dword v57, off, s[76:79], 0 offset:40 ; 4-byte Folded Spill
	v_mul_u32_u24_e32 v12, 7, v102
	v_lshl_add_u32 v95, v12, 3, v97
	v_accvgpr_write_b32 a33, v95
	v_fma_f32 v5, v39, v56, -v5
	ds_write2_b64 v94, v[6:7], v[4:5] offset0:221 offset1:238
	s_waitcnt vmcnt(29)
	v_mul_f32_e32 v4, v23, v65
	v_fmac_f32_e32 v4, v22, v64
	v_mul_f32_e32 v5, v22, v65
	buffer_store_dword v64, off, s[76:79], 0 offset:28 ; 4-byte Folded Spill
	s_nop 0
	buffer_store_dword v65, off, s[76:79], 0 offset:32 ; 4-byte Folded Spill
	v_fma_f32 v5, v23, v64, -v5
	ds_write2_b64 v32, v[8:9], v[4:5] offset0:50 offset1:67
	s_waitcnt vmcnt(30)
	v_mul_f32_e32 v4, v47, v59
	v_fmac_f32_e32 v4, v46, v58
	v_mul_f32_e32 v5, v46, v59
	buffer_store_dword v58, off, s[76:79], 0 offset:20 ; 4-byte Folded Spill
	s_nop 0
	buffer_store_dword v59, off, s[76:79], 0 offset:24 ; 4-byte Folded Spill
	v_fma_f32 v5, v47, v58, -v5
	ds_write2_b64 v32, v[10:11], v[4:5] offset0:135 offset1:152
	s_waitcnt vmcnt(31)
	v_mul_f32_e32 v4, v3, v61
	v_fmac_f32_e32 v4, v2, v60
	v_mul_f32_e32 v2, v2, v61
	buffer_store_dword v60, off, s[76:79], 0 offset:12 ; 4-byte Folded Spill
	s_nop 0
	buffer_store_dword v61, off, s[76:79], 0 offset:16 ; 4-byte Folded Spill
	v_fma_f32 v5, v3, v60, -v2
	s_waitcnt vmcnt(32)
	v_mul_f32_e32 v2, v1, v63
	ds_write2_b64 v32, v[16:17], v[4:5] offset0:220 offset1:237
	v_fmac_f32_e32 v2, v0, v62
	v_mul_f32_e32 v0, v0, v63
	buffer_store_dword v62, off, s[76:79], 0 offset:4 ; 4-byte Folded Spill
	s_nop 0
	buffer_store_dword v63, off, s[76:79], 0 offset:8 ; 4-byte Folded Spill
	v_add_u32_e32 v4, 0xc00, v94
	v_fma_f32 v3, v1, v62, -v0
	v_mul_lo_u16_e32 v0, 7, v96
	ds_write2_b64 v33, v[18:19], v[2:3] offset0:49 offset1:66
	s_waitcnt lgkmcnt(0)
	; wave barrier
	s_waitcnt lgkmcnt(0)
	v_lshl_add_u32 v99, v0, 3, v97
	ds_read2_b64 v[22:25], v94 offset0:102 offset1:119
	ds_read2_b64 v[0:3], v94 offset0:170 offset1:187
	ds_read2_b64 v[26:29], v32 offset0:16 offset1:33
	ds_read2_b64 v[8:11], v4 offset0:126 offset1:143
	ds_read2_b64 v[34:37], v32 offset0:186 offset1:203
	ds_read2_b64 v[4:7], v32 offset0:84 offset1:101
	ds_read2_b64 v[12:15], v94 offset1:17
	v_accvgpr_write_b32 a189, v99
	s_waitcnt lgkmcnt(3)
	v_pk_add_f32 v[16:17], v[22:23], v[10:11]
	s_waitcnt lgkmcnt(2)
	v_pk_add_f32 v[18:19], v[2:3], v[34:35]
	;; [unrolled: 2-line block ×3, first 2 shown]
	v_pk_add_f32 v[30:31], v[18:19], v[16:17]
	v_pk_add_f32 v[10:11], v[22:23], v[10:11] neg_lo:[0,1] neg_hi:[0,1]
	v_pk_add_f32 v[22:23], v[2:3], v[34:35] neg_lo:[0,1] neg_hi:[0,1]
	;; [unrolled: 1-line block ×3, first 2 shown]
	v_mov_b32_e32 v6, v20
	v_mov_b32_e32 v7, v17
	;; [unrolled: 1-line block ×4, first 2 shown]
	v_pk_add_f32 v[30:31], v[20:21], v[30:31]
	v_pk_add_f32 v[6:7], v[6:7], v[26:27] neg_lo:[0,1] neg_hi:[0,1]
	v_mov_b32_e32 v26, v16
	v_mov_b32_e32 v21, v19
	;; [unrolled: 1-line block ×6, first 2 shown]
	v_pk_add_f32 v[20:21], v[26:27], v[20:21] neg_lo:[0,1] neg_hi:[0,1]
	v_pk_add_f32 v[26:27], v[2:3], v[22:23]
	v_pk_add_f32 v[34:35], v[34:35], v[38:39] neg_lo:[0,1] neg_hi:[0,1]
	v_mov_b32_e32 v38, v11
	v_mov_b32_e32 v2, v3
	;; [unrolled: 1-line block ×3, first 2 shown]
	s_waitcnt lgkmcnt(0)
	v_pk_add_f32 v[14:15], v[14:15], v[30:31]
	v_pk_add_f32 v[2:3], v[38:39], v[2:3] neg_lo:[0,1] neg_hi:[0,1]
	v_pk_add_f32 v[26:27], v[26:27], v[10:11]
	v_pk_mul_f32 v[38:39], v[6:7], s[12:13]
	v_pk_mul_f32 v[34:35], v[34:35], s[24:25]
	;; [unrolled: 1-line block ×3, first 2 shown]
	v_pk_mul_f32 v[6:7], v[26:27], s[8:9] op_sel_hi:[1,0]
	v_pk_mul_f32 v[42:43], v[2:3], s[16:17]
	v_pk_fma_f32 v[30:31], v[30:31], s[14:15], v[14:15] op_sel_hi:[1,0,1] neg_lo:[1,0,0] neg_hi:[1,0,0]
	v_pk_fma_f32 v[20:21], v[20:21], s[22:23], v[38:39]
	v_pk_fma_f32 v[2:3], v[2:3], s[16:17], v[34:35]
	v_pk_add_f32 v[20:21], v[20:21], v[30:31]
	v_pk_add_f32 v[6:7], v[6:7], v[2:3] op_sel:[1,0] op_sel_hi:[0,1]
	v_pk_add_f32 v[2:3], v[20:21], v[6:7]
	v_pk_add_f32 v[6:7], v[20:21], v[6:7] neg_lo:[0,1] neg_hi:[0,1]
	v_pk_add_f32 v[18:19], v[18:19], v[16:17] neg_lo:[0,1] neg_hi:[0,1]
	;; [unrolled: 1-line block ×3, first 2 shown]
	v_mov_b32_e32 v10, v40
	v_mov_b32_e32 v11, v39
	v_mov_b32_e32 v16, v35
	v_mov_b32_e32 v17, v42
	v_pk_fma_f32 v[10:11], v[18:19], s[18:19], v[10:11] op_sel_hi:[1,0,1] neg_lo:[1,0,1] neg_hi:[1,0,1]
	v_pk_fma_f32 v[16:17], v[20:21], s[20:21], v[16:17] op_sel_hi:[1,0,1] neg_lo:[1,0,1] neg_hi:[1,0,1]
	v_pk_add_f32 v[22:23], v[10:11], v[30:31]
	v_pk_fma_f32 v[16:17], v[26:27], s[8:9], v[16:17] op_sel_hi:[1,0,1]
	v_mov_b32_e32 v39, v41
	v_pk_add_f32 v[10:11], v[22:23], v[16:17] op_sel:[0,1] op_sel_hi:[1,0]
	v_pk_add_f32 v[16:17], v[22:23], v[16:17] op_sel:[0,1] op_sel_hi:[1,0] neg_lo:[0,1] neg_hi:[0,1]
	v_pk_fma_f32 v[18:19], v[18:19], s[18:19], v[38:39] op_sel_hi:[1,0,1] neg_lo:[0,0,1] neg_hi:[0,0,1]
	v_mov_b32_e32 v22, v43
	ds_read2_b64 v[38:41], v33 offset0:32 offset1:49
	ds_read2_b64 v[42:45], v94 offset0:204 offset1:221
	;; [unrolled: 1-line block ×3, first 2 shown]
	v_mov_b32_e32 v23, v34
	v_pk_fma_f32 v[20:21], v[20:21], s[20:21], v[22:23] op_sel_hi:[1,0,1] neg_lo:[0,0,1] neg_hi:[0,0,1]
	ds_read2_b64 v[50:53], v94 offset0:34 offset1:51
	v_pk_add_f32 v[18:19], v[18:19], v[30:31]
	v_pk_fma_f32 v[22:23], v[26:27], s[8:9], v[20:21] op_sel_hi:[1,0,1]
	v_pk_add_f32 v[20:21], v[18:19], v[22:23] op_sel:[0,1] op_sel_hi:[1,0] neg_lo:[0,1] neg_hi:[0,1]
	v_pk_add_f32 v[18:19], v[18:19], v[22:23] op_sel:[0,1] op_sel_hi:[1,0]
	v_mul_u32_u24_e32 v22, 7, v103
	s_waitcnt lgkmcnt(3)
	v_pk_add_f32 v[30:31], v[24:25], v[38:39]
	s_waitcnt lgkmcnt(2)
	v_pk_add_f32 v[34:35], v[42:43], v[36:37]
	v_lshl_add_u32 v98, v22, 3, v97
	s_waitcnt lgkmcnt(1)
	v_pk_add_f32 v[26:27], v[28:29], v[46:47]
	v_pk_add_f32 v[22:23], v[34:35], v[30:31]
	;; [unrolled: 1-line block ×3, first 2 shown]
	v_pk_add_f32 v[38:39], v[24:25], v[38:39] neg_lo:[0,1] neg_hi:[0,1]
	v_pk_add_f32 v[36:37], v[42:43], v[36:37] neg_lo:[0,1] neg_hi:[0,1]
	;; [unrolled: 1-line block ×3, first 2 shown]
	v_mov_b32_e32 v28, v26
	v_mov_b32_e32 v29, v31
	;; [unrolled: 1-line block ×4, first 2 shown]
	s_waitcnt lgkmcnt(0)
	v_pk_add_f32 v[22:23], v[50:51], v[54:55]
	v_pk_add_f32 v[28:29], v[28:29], v[42:43] neg_lo:[0,1] neg_hi:[0,1]
	v_mov_b32_e32 v42, v30
	v_mov_b32_e32 v27, v35
	;; [unrolled: 1-line block ×6, first 2 shown]
	v_pk_add_f32 v[26:27], v[42:43], v[26:27] neg_lo:[0,1] neg_hi:[0,1]
	v_pk_add_f32 v[42:43], v[24:25], v[36:37]
	v_pk_add_f32 v[46:47], v[46:47], v[50:51] neg_lo:[0,1] neg_hi:[0,1]
	v_mov_b32_e32 v50, v39
	v_mov_b32_e32 v24, v25
	;; [unrolled: 1-line block ×3, first 2 shown]
	v_pk_add_f32 v[24:25], v[50:51], v[24:25] neg_lo:[0,1] neg_hi:[0,1]
	v_pk_mul_f32 v[28:29], v[28:29], s[12:13]
	v_pk_mul_f32 v[50:51], v[26:27], s[22:23]
	;; [unrolled: 1-line block ×4, first 2 shown]
	v_pk_fma_f32 v[26:27], v[26:27], s[22:23], v[28:29]
	v_pk_add_f32 v[30:31], v[34:35], v[30:31] neg_lo:[0,1] neg_hi:[0,1]
	v_pk_add_f32 v[34:35], v[36:37], v[38:39] neg_lo:[0,1] neg_hi:[0,1]
	v_mov_b32_e32 v36, v50
	v_mov_b32_e32 v37, v29
	;; [unrolled: 1-line block ×3, first 2 shown]
	v_pk_add_f32 v[42:43], v[42:43], v[38:39]
	v_pk_fma_f32 v[36:37], v[30:31], s[18:19], v[36:37] op_sel_hi:[1,0,1] neg_lo:[1,0,1] neg_hi:[1,0,1]
	v_mov_b32_e32 v38, v47
	v_mov_b32_e32 v39, v58
	v_pk_fma_f32 v[28:29], v[30:31], s[18:19], v[28:29] op_sel_hi:[1,0,1] neg_lo:[0,0,1] neg_hi:[0,0,1]
	v_mov_b32_e32 v30, v59
	v_mov_b32_e32 v31, v46
	v_pk_mul_f32 v[56:57], v[42:43], s[8:9] op_sel_hi:[1,0]
	v_pk_fma_f32 v[54:55], v[54:55], s[14:15], v[22:23] op_sel_hi:[1,0,1] neg_lo:[1,0,0] neg_hi:[1,0,0]
	v_pk_fma_f32 v[24:25], v[24:25], s[16:17], v[46:47]
	v_pk_fma_f32 v[38:39], v[34:35], s[20:21], v[38:39] op_sel_hi:[1,0,1] neg_lo:[1,0,1] neg_hi:[1,0,1]
	v_pk_fma_f32 v[30:31], v[34:35], s[20:21], v[30:31] op_sel_hi:[1,0,1] neg_lo:[0,0,1] neg_hi:[0,0,1]
	v_pk_add_f32 v[26:27], v[26:27], v[54:55]
	v_pk_add_f32 v[56:57], v[56:57], v[24:25] op_sel:[1,0] op_sel_hi:[0,1]
	v_pk_add_f32 v[36:37], v[36:37], v[54:55]
	v_pk_fma_f32 v[38:39], v[42:43], s[8:9], v[38:39] op_sel_hi:[1,0,1]
	v_pk_add_f32 v[28:29], v[28:29], v[54:55]
	v_pk_fma_f32 v[30:31], v[42:43], s[8:9], v[30:31] op_sel_hi:[1,0,1]
	v_pk_add_f32 v[24:25], v[26:27], v[56:57]
	v_pk_add_f32 v[26:27], v[26:27], v[56:57] neg_lo:[0,1] neg_hi:[0,1]
	v_pk_add_f32 v[60:61], v[36:37], v[38:39] op_sel:[0,1] op_sel_hi:[1,0]
	v_pk_add_f32 v[62:63], v[36:37], v[38:39] op_sel:[0,1] op_sel_hi:[1,0] neg_lo:[0,1] neg_hi:[0,1]
	v_pk_add_f32 v[50:51], v[28:29], v[30:31] op_sel:[0,1] op_sel_hi:[1,0] neg_lo:[0,1] neg_hi:[0,1]
	v_pk_add_f32 v[58:59], v[28:29], v[30:31] op_sel:[0,1] op_sel_hi:[1,0]
	ds_read2_b64 v[28:31], v94 offset0:136 offset1:153
	ds_read2_b64 v[34:37], v32 offset0:220 offset1:237
	;; [unrolled: 1-line block ×3, first 2 shown]
	v_mul_u32_u24_e32 v38, 7, v76
	v_lshl_add_u32 v100, v38, 3, v97
	s_waitcnt lgkmcnt(2)
	v_pk_add_f32 v[38:39], v[28:29], v[40:41]
	s_waitcnt lgkmcnt(1)
	v_pk_add_f32 v[42:43], v[44:45], v[34:35]
	;; [unrolled: 2-line block ×3, first 2 shown]
	v_pk_add_f32 v[64:65], v[42:43], v[38:39]
	v_pk_add_f32 v[28:29], v[28:29], v[40:41] neg_lo:[0,1] neg_hi:[0,1]
	v_pk_add_f32 v[34:35], v[44:45], v[34:35] neg_lo:[0,1] neg_hi:[0,1]
	;; [unrolled: 1-line block ×3, first 2 shown]
	v_mov_b32_e32 v44, v46
	v_mov_b32_e32 v45, v39
	;; [unrolled: 1-line block ×4, first 2 shown]
	v_pk_add_f32 v[64:65], v[46:47], v[64:65]
	v_pk_add_f32 v[44:45], v[44:45], v[48:49] neg_lo:[0,1] neg_hi:[0,1]
	v_mov_b32_e32 v48, v38
	v_mov_b32_e32 v47, v43
	;; [unrolled: 1-line block ×6, first 2 shown]
	v_pk_add_f32 v[46:47], v[48:49], v[46:47] neg_lo:[0,1] neg_hi:[0,1]
	v_pk_add_f32 v[48:49], v[40:41], v[34:35]
	v_pk_add_f32 v[54:55], v[54:55], v[66:67] neg_lo:[0,1] neg_hi:[0,1]
	v_mov_b32_e32 v66, v29
	v_mov_b32_e32 v40, v41
	;; [unrolled: 1-line block ×3, first 2 shown]
	v_pk_add_f32 v[52:53], v[52:53], v[64:65]
	v_pk_add_f32 v[40:41], v[66:67], v[40:41] neg_lo:[0,1] neg_hi:[0,1]
	v_pk_add_f32 v[48:49], v[48:49], v[28:29]
	v_pk_mul_f32 v[44:45], v[44:45], s[12:13]
	v_pk_mul_f32 v[54:55], v[54:55], s[24:25]
	;; [unrolled: 1-line block ×3, first 2 shown]
	v_pk_mul_f32 v[68:69], v[48:49], s[8:9] op_sel_hi:[1,0]
	v_pk_mul_f32 v[70:71], v[40:41], s[16:17]
	v_pk_fma_f32 v[64:65], v[64:65], s[14:15], v[52:53] op_sel_hi:[1,0,1] neg_lo:[1,0,0] neg_hi:[1,0,0]
	v_pk_fma_f32 v[46:47], v[46:47], s[22:23], v[44:45]
	v_pk_fma_f32 v[40:41], v[40:41], s[16:17], v[54:55]
	v_pk_add_f32 v[46:47], v[46:47], v[64:65]
	v_pk_add_f32 v[40:41], v[68:69], v[40:41] op_sel:[1,0] op_sel_hi:[0,1]
	v_pk_add_f32 v[68:69], v[46:47], v[40:41]
	v_pk_add_f32 v[72:73], v[46:47], v[40:41] neg_lo:[0,1] neg_hi:[0,1]
	v_pk_add_f32 v[38:39], v[42:43], v[38:39] neg_lo:[0,1] neg_hi:[0,1]
	v_pk_add_f32 v[28:29], v[34:35], v[28:29] neg_lo:[0,1] neg_hi:[0,1]
	v_mov_b32_e32 v34, v66
	v_mov_b32_e32 v35, v45
	;; [unrolled: 1-line block ×4, first 2 shown]
	v_pk_fma_f32 v[34:35], v[38:39], s[18:19], v[34:35] op_sel_hi:[1,0,1] neg_lo:[1,0,1] neg_hi:[1,0,1]
	v_pk_fma_f32 v[40:41], v[28:29], s[20:21], v[40:41] op_sel_hi:[1,0,1] neg_lo:[1,0,1] neg_hi:[1,0,1]
	v_pk_add_f32 v[34:35], v[34:35], v[64:65]
	v_pk_fma_f32 v[40:41], v[48:49], s[8:9], v[40:41] op_sel_hi:[1,0,1]
	v_pk_add_f32 v[74:75], v[34:35], v[40:41] op_sel:[0,1] op_sel_hi:[1,0]
	v_pk_add_f32 v[34:35], v[34:35], v[40:41] op_sel:[0,1] op_sel_hi:[1,0] neg_lo:[0,1] neg_hi:[0,1]
	v_mov_b32_e32 v45, v67
	v_mov_b32_e32 v40, v71
	v_mov_b32_e32 v41, v54
	v_pk_fma_f32 v[38:39], v[38:39], s[18:19], v[44:45] op_sel_hi:[1,0,1] neg_lo:[0,0,1] neg_hi:[0,0,1]
	v_pk_fma_f32 v[28:29], v[28:29], s[20:21], v[40:41] op_sel_hi:[1,0,1] neg_lo:[0,0,1] neg_hi:[0,0,1]
	v_pk_add_f32 v[38:39], v[38:39], v[64:65]
	v_pk_fma_f32 v[28:29], v[48:49], s[8:9], v[28:29] op_sel_hi:[1,0,1]
	v_mul_u32_u24_e32 v46, 7, v77
	v_pk_add_f32 v[54:55], v[38:39], v[28:29] op_sel:[0,1] op_sel_hi:[1,0] neg_lo:[0,1] neg_hi:[0,1]
	v_pk_add_f32 v[28:29], v[38:39], v[28:29] op_sel:[0,1] op_sel_hi:[1,0]
	ds_read_b64 v[64:65], v94 offset:4624
	ds_read2_b64 v[38:41], v94 offset0:238 offset1:255
	ds_read2_b64 v[42:45], v32 offset0:152 offset1:169
	v_lshl_add_u32 v101, v46, 3, v97
	ds_read2_b64 v[46:49], v94 offset0:68 offset1:85
	s_waitcnt lgkmcnt(0)
	v_pk_add_f32 v[84:85], v[40:41], v[4:5]
	v_pk_add_f32 v[82:83], v[0:1], v[44:45]
	v_pk_add_f32 v[0:1], v[0:1], v[44:45] neg_lo:[0,1] neg_hi:[0,1]
	v_pk_add_f32 v[80:81], v[48:49], v[8:9]
	v_pk_add_f32 v[86:87], v[82:83], v[80:81]
	v_pk_add_f32 v[4:5], v[4:5], v[40:41] neg_lo:[0,1] neg_hi:[0,1]
	v_mov_b32_e32 v40, v84
	v_mov_b32_e32 v41, v81
	;; [unrolled: 1-line block ×4, first 2 shown]
	v_pk_add_f32 v[86:87], v[84:85], v[86:87]
	v_pk_add_f32 v[8:9], v[48:49], v[8:9] neg_lo:[0,1] neg_hi:[0,1]
	v_pk_add_f32 v[40:41], v[40:41], v[44:45] neg_lo:[0,1] neg_hi:[0,1]
	v_mov_b32_e32 v44, v80
	v_mov_b32_e32 v85, v83
	v_pk_add_f32 v[44:45], v[44:45], v[84:85] neg_lo:[0,1] neg_hi:[0,1]
	v_mov_b32_e32 v84, v5
	v_mov_b32_e32 v85, v8
	;; [unrolled: 1-line block ×4, first 2 shown]
	v_pk_add_f32 v[48:49], v[4:5], v[0:1]
	v_pk_add_f32 v[84:85], v[84:85], v[88:89] neg_lo:[0,1] neg_hi:[0,1]
	v_mov_b32_e32 v88, v9
	v_mov_b32_e32 v4, v5
	;; [unrolled: 1-line block ×3, first 2 shown]
	v_pk_add_f32 v[12:13], v[12:13], v[86:87]
	v_pk_add_f32 v[4:5], v[88:89], v[4:5] neg_lo:[0,1] neg_hi:[0,1]
	v_pk_add_f32 v[48:49], v[48:49], v[8:9]
	v_pk_mul_f32 v[40:41], v[40:41], s[12:13]
	v_pk_mul_f32 v[84:85], v[84:85], s[24:25]
	;; [unrolled: 1-line block ×3, first 2 shown]
	v_pk_mul_f32 v[90:91], v[48:49], s[8:9] op_sel_hi:[1,0]
	v_pk_mul_f32 v[92:93], v[4:5], s[16:17]
	v_pk_fma_f32 v[86:87], v[86:87], s[14:15], v[12:13] op_sel_hi:[1,0,1] neg_lo:[1,0,0] neg_hi:[1,0,0]
	v_pk_fma_f32 v[44:45], v[44:45], s[22:23], v[40:41]
	v_pk_fma_f32 v[4:5], v[4:5], s[16:17], v[84:85]
	v_pk_add_f32 v[44:45], v[44:45], v[86:87]
	v_pk_add_f32 v[4:5], v[90:91], v[4:5] op_sel:[1,0] op_sel_hi:[0,1]
	v_pk_add_f32 v[90:91], v[44:45], v[4:5]
	v_pk_add_f32 v[4:5], v[44:45], v[4:5] neg_lo:[0,1] neg_hi:[0,1]
	v_mov_b32_e32 v44, v90
	v_mov_b32_e32 v45, v5
	; wave barrier
	ds_write2_b64 v99, v[12:13], v[44:45] offset1:1
	v_pk_add_f32 v[12:13], v[82:83], v[80:81] neg_lo:[0,1] neg_hi:[0,1]
	v_pk_add_f32 v[0:1], v[0:1], v[8:9] neg_lo:[0,1] neg_hi:[0,1]
	v_mov_b32_e32 v8, v88
	v_mov_b32_e32 v9, v41
	;; [unrolled: 1-line block ×3, first 2 shown]
	v_pk_fma_f32 v[8:9], v[12:13], s[18:19], v[8:9] op_sel_hi:[1,0,1] neg_lo:[1,0,1] neg_hi:[1,0,1]
	v_mov_b32_e32 v44, v85
	v_mov_b32_e32 v45, v92
	v_pk_fma_f32 v[12:13], v[12:13], s[18:19], v[40:41] op_sel_hi:[1,0,1] neg_lo:[0,0,1] neg_hi:[0,0,1]
	v_mov_b32_e32 v40, v93
	v_mov_b32_e32 v41, v84
	v_pk_fma_f32 v[44:45], v[0:1], s[20:21], v[44:45] op_sel_hi:[1,0,1] neg_lo:[1,0,1] neg_hi:[1,0,1]
	v_pk_fma_f32 v[0:1], v[0:1], s[20:21], v[40:41] op_sel_hi:[1,0,1] neg_lo:[0,0,1] neg_hi:[0,0,1]
	v_pk_add_f32 v[8:9], v[8:9], v[86:87]
	v_pk_fma_f32 v[44:45], v[48:49], s[8:9], v[44:45] op_sel_hi:[1,0,1]
	v_pk_add_f32 v[12:13], v[12:13], v[86:87]
	v_pk_fma_f32 v[0:1], v[48:49], s[8:9], v[0:1] op_sel_hi:[1,0,1]
	v_pk_add_f32 v[80:81], v[8:9], v[44:45] op_sel:[0,1] op_sel_hi:[1,0]
	v_pk_add_f32 v[8:9], v[8:9], v[44:45] op_sel:[0,1] op_sel_hi:[1,0] neg_lo:[0,1] neg_hi:[0,1]
	v_pk_add_f32 v[40:41], v[12:13], v[0:1] op_sel:[0,1] op_sel_hi:[1,0] neg_lo:[0,1] neg_hi:[0,1]
	v_pk_add_f32 v[0:1], v[12:13], v[0:1] op_sel:[0,1] op_sel_hi:[1,0]
	v_mov_b32_e32 v13, v9
	v_mov_b32_e32 v45, v1
	v_mov_b32_e32 v1, v41
	v_mov_b32_e32 v9, v81
	v_mov_b32_e32 v12, v80
	v_mov_b32_e32 v44, v40
	ds_write2_b64 v99, v[0:1], v[8:9] offset0:4 offset1:5
	v_mov_b32_e32 v5, v91
	v_mov_b32_e32 v0, v2
	;; [unrolled: 1-line block ×3, first 2 shown]
	ds_write2_b64 v99, v[12:13], v[44:45] offset0:2 offset1:3
	ds_write_b64 v99, v[4:5] offset:48
	ds_write2_b64 v95, v[14:15], v[0:1] offset1:1
	v_mov_b32_e32 v0, v10
	v_mov_b32_e32 v1, v17
	;; [unrolled: 1-line block ×4, first 2 shown]
	ds_write2_b64 v95, v[0:1], v[4:5] offset0:2 offset1:3
	v_mov_b32_e32 v19, v21
	v_mov_b32_e32 v17, v11
	;; [unrolled: 1-line block ×5, first 2 shown]
	ds_write2_b64 v95, v[18:19], v[16:17] offset0:4 offset1:5
	ds_write_b64 v95, v[6:7] offset:48
	ds_write2_b64 v98, v[22:23], v[0:1] offset1:1
	v_mov_b32_e32 v0, v60
	v_mov_b32_e32 v1, v63
	;; [unrolled: 1-line block ×4, first 2 shown]
	ds_write2_b64 v98, v[0:1], v[2:3] offset0:2 offset1:3
	v_mov_b32_e32 v59, v51
	v_mov_b32_e32 v63, v61
	v_mov_b32_e32 v27, v25
	v_mov_b32_e32 v0, v68
	v_mov_b32_e32 v1, v73
	v_pk_add_f32 v[66:67], v[30:31], v[64:65]
	v_pk_add_f32 v[70:71], v[38:39], v[36:37]
	ds_write2_b64 v98, v[58:59], v[62:63] offset0:4 offset1:5
	ds_write_b64 v98, v[26:27] offset:48
	ds_write2_b64 v100, v[52:53], v[0:1] offset1:1
	v_mov_b32_e32 v0, v74
	v_mov_b32_e32 v1, v35
	;; [unrolled: 1-line block ×4, first 2 shown]
	v_pk_add_f32 v[76:77], v[56:57], v[42:43]
	v_pk_add_f32 v[78:79], v[70:71], v[66:67]
	ds_write2_b64 v100, v[0:1], v[2:3] offset0:2 offset1:3
	v_pk_add_f32 v[0:1], v[30:31], v[64:65] neg_lo:[0,1] neg_hi:[0,1]
	v_pk_add_f32 v[2:3], v[38:39], v[36:37] neg_lo:[0,1] neg_hi:[0,1]
	;; [unrolled: 1-line block ×3, first 2 shown]
	v_pk_add_f32 v[78:79], v[76:77], v[78:79]
	v_pk_add_f32 v[6:7], v[70:71], v[66:67] neg_lo:[0,1] neg_hi:[0,1]
	v_pk_add_f32 v[8:9], v[66:67], v[76:77] neg_lo:[0,1] neg_hi:[0,1]
	v_pk_add_f32 v[10:11], v[4:5], v[2:3]
	v_pk_add_f32 v[14:15], v[2:3], v[0:1] neg_lo:[0,1] neg_hi:[0,1]
	v_pk_add_f32 v[46:47], v[46:47], v[78:79]
	;; [unrolled: 2-line block ×3, first 2 shown]
	v_pk_mul_f32 v[8:9], v[8:9], s[22:23] op_sel_hi:[1,0]
	v_pk_mul_f32 v[10:11], v[6:7], s[18:19] op_sel_hi:[1,0]
	;; [unrolled: 1-line block ×4, first 2 shown]
	v_pk_fma_f32 v[20:21], v[78:79], s[14:15], v[46:47] op_sel_hi:[1,0,1] neg_lo:[1,0,0] neg_hi:[1,0,0]
	v_pk_add_f32 v[10:11], v[8:9], v[10:11] op_sel:[1,1] op_sel_hi:[0,0] neg_lo:[1,1] neg_hi:[1,1]
	v_pk_fma_f32 v[12:13], v[12:13], s[16:17], v[18:19] op_sel_hi:[1,0,1] neg_lo:[1,0,1] neg_hi:[1,0,1]
	v_pk_add_f32 v[10:11], v[10:11], v[20:21] op_sel:[0,1] op_sel_hi:[1,0]
	v_pk_fma_f32 v[12:13], v[0:1], s[8:9], v[12:13] op_sel_hi:[1,0,1]
	v_pk_add_f32 v[18:19], v[10:11], v[12:13]
	v_pk_add_f32 v[10:11], v[10:11], v[12:13] neg_lo:[0,1] neg_hi:[0,1]
	v_pk_add_f32 v[12:13], v[76:77], v[70:71] neg_lo:[0,1] neg_hi:[0,1]
	;; [unrolled: 1-line block ×3, first 2 shown]
	s_mov_b32 s14, s17
	v_pk_mul_f32 v[22:23], v[12:13], s[12:13] op_sel_hi:[1,0]
	v_pk_mul_f32 v[4:5], v[2:3], s[14:15] op_sel_hi:[1,0]
	v_pk_fma_f32 v[6:7], v[6:7], s[18:19], v[22:23] op_sel_hi:[1,0,1] neg_lo:[0,0,1] neg_hi:[0,0,1]
	v_pk_fma_f32 v[4:5], v[14:15], s[20:21], v[4:5] op_sel_hi:[1,0,1] neg_lo:[0,0,1] neg_hi:[0,0,1]
	v_pk_fma_f32 v[8:9], v[12:13], s[12:13], v[8:9] op_sel_hi:[1,0,1]
	v_pk_fma_f32 v[2:3], v[2:3], s[14:15], v[16:17] op_sel_hi:[1,0,1]
	v_pk_add_f32 v[6:7], v[6:7], v[20:21]
	v_pk_fma_f32 v[4:5], v[0:1], s[8:9], v[4:5] op_sel_hi:[1,0,1]
	v_pk_add_f32 v[12:13], v[6:7], v[4:5] op_sel:[0,1] op_sel_hi:[1,0] neg_lo:[0,1] neg_hi:[0,1]
	v_pk_add_f32 v[4:5], v[6:7], v[4:5] op_sel:[0,1] op_sel_hi:[1,0]
	v_pk_add_f32 v[6:7], v[8:9], v[20:21]
	v_pk_fma_f32 v[0:1], v[0:1], s[8:9], v[2:3] op_sel_hi:[1,0,1]
	v_pk_add_f32 v[188:189], v[6:7], v[0:1] op_sel:[0,1] op_sel_hi:[1,0] neg_lo:[0,1] neg_hi:[0,1]
	v_pk_add_f32 v[0:1], v[6:7], v[0:1] op_sel:[0,1] op_sel_hi:[1,0]
	v_mov_b32_e32 v29, v55
	v_mov_b32_e32 v35, v75
	;; [unrolled: 1-line block ×5, first 2 shown]
	ds_write2_b64 v100, v[28:29], v[34:35] offset0:4 offset1:5
	ds_write_b64 v100, v[72:73] offset:48
	ds_write2_b64 v101, v[46:47], v[2:3] offset1:1
	v_mov_b32_e32 v2, v19
	v_mov_b32_e32 v3, v10
	;; [unrolled: 1-line block ×4, first 2 shown]
	ds_write2_b64 v101, v[2:3], v[6:7] offset0:2 offset1:3
	v_mov_b32_e32 v5, v13
	v_mov_b32_e32 v2, v11
	;; [unrolled: 1-line block ×4, first 2 shown]
	v_add_u32_e32 v0, 0x400, v94
	ds_write2_b64 v101, v[4:5], v[2:3] offset0:4 offset1:5
	ds_write_b64 v101, v[188:189] offset:48
	s_waitcnt lgkmcnt(0)
	; wave barrier
	s_waitcnt lgkmcnt(0)
	ds_read2_b64 v[192:195], v94 offset1:17
	ds_read2_b64 v[158:161], v94 offset0:35 offset1:52
	ds_read2_b64 v[154:157], v94 offset0:70 offset1:87
	;; [unrolled: 1-line block ×16, first 2 shown]
	v_accvgpr_write_b32 a187, v98
	v_accvgpr_write_b32 a183, v100
	;; [unrolled: 1-line block ×3, first 2 shown]
                                        ; implicit-def: $vgpr62
                                        ; implicit-def: $vgpr48
                                        ; implicit-def: $vgpr32
                                        ; implicit-def: $vgpr36
                                        ; implicit-def: $vgpr10
                                        ; implicit-def: $vgpr8
                                        ; implicit-def: $vgpr66
                                        ; implicit-def: $vgpr70
                                        ; implicit-def: $vgpr0
                                        ; implicit-def: $vgpr74
                                        ; implicit-def: $vgpr2
                                        ; implicit-def: $vgpr12
                                        ; implicit-def: $vgpr14
	s_and_saveexec_b64 s[8:9], vcc
	s_cbranch_execz .LBB0_3
; %bb.2:
	v_add_u32_e32 v0, 0x400, v97
	ds_read2_b64 v[188:191], v97 offset0:34 offset1:69
	ds_read2_b64 v[72:75], v97 offset0:104 offset1:139
	;; [unrolled: 1-line block ×4, first 2 shown]
	v_add_u32_e32 v0, 0x800, v97
	ds_read2_b64 v[60:63], v0 offset0:58 offset1:93
	ds_read2_b64 v[48:51], v0 offset0:128 offset1:163
	;; [unrolled: 1-line block ×3, first 2 shown]
	v_add_u32_e32 v0, 0x1000, v97
	ds_read2_b64 v[36:39], v0 offset0:12 offset1:47
	ds_read_b64 v[162:163], v97 offset:4752
	s_waitcnt lgkmcnt(4)
	v_mov_b32_e32 v166, v63
	s_waitcnt lgkmcnt(3)
	v_mov_b32_e32 v176, v49
	v_mov_b32_e32 v174, v51
	s_waitcnt lgkmcnt(2)
	v_mov_b32_e32 v172, v33
	;; [unrolled: 3-line block ×4, first 2 shown]
	v_mov_b32_e32 v164, v61
	v_mov_b32_e32 v178, v67
	;; [unrolled: 1-line block ×8, first 2 shown]
.LBB0_3:
	s_or_b64 exec, exec, s[8:9]
	v_mov_b32_e32 v3, 37
	v_accvgpr_read_b32 v6, a32
	v_mul_lo_u16_sdwa v1, v6, v3 dst_sel:DWORD dst_unused:UNUSED_PAD src0_sel:BYTE_0 src1_sel:DWORD
	v_sub_u16_sdwa v4, v6, v1 dst_sel:DWORD dst_unused:UNUSED_PAD src0_sel:DWORD src1_sel:BYTE_1
	v_lshrrev_b16_e32 v4, 1, v4
	v_and_b32_e32 v4, 0x7f, v4
	v_add_u16_sdwa v1, v4, v1 dst_sel:DWORD dst_unused:UNUSED_PAD src0_sel:DWORD src1_sel:BYTE_1
	v_lshrrev_b16_e32 v33, 2, v1
	v_mul_lo_u16_e32 v1, 7, v33
	v_mul_lo_u16_sdwa v5, v102, v3 dst_sel:DWORD dst_unused:UNUSED_PAD src0_sel:BYTE_0 src1_sel:DWORD
	v_sub_u16_e32 v35, v6, v1
	v_sub_u16_sdwa v6, v102, v5 dst_sel:DWORD dst_unused:UNUSED_PAD src0_sel:DWORD src1_sel:BYTE_1
	v_lshrrev_b16_e32 v6, 1, v6
	v_and_b32_e32 v6, 0x7f, v6
	v_add_u16_sdwa v5, v6, v5 dst_sel:DWORD dst_unused:UNUSED_PAD src0_sel:DWORD src1_sel:BYTE_1
	v_lshrrev_b16_e32 v6, 2, v5
	v_mov_b32_e32 v4, 7
	v_mul_lo_u16_e32 v5, 7, v6
	v_lshlrev_b32_sdwa v1, v4, v35 dst_sel:DWORD dst_unused:UNUSED_PAD src0_sel:DWORD src1_sel:BYTE_0
	v_sub_u16_e32 v151, v102, v5
	global_load_dwordx4 v[134:137], v1, s[2:3]
	global_load_dwordx4 v[138:141], v1, s[2:3] offset:16
	global_load_dwordx4 v[146:149], v1, s[2:3] offset:48
	;; [unrolled: 1-line block ×3, first 2 shown]
	v_lshlrev_b32_sdwa v39, v4, v151 dst_sel:DWORD dst_unused:UNUSED_PAD src0_sel:DWORD src1_sel:BYTE_0
	global_load_dwordx4 v[114:117], v39, s[2:3]
	global_load_dwordx4 v[118:121], v39, s[2:3] offset:16
	global_load_dwordx4 a[6:9], v39, s[2:3] offset:48
	;; [unrolled: 1-line block ×3, first 2 shown]
	v_mul_lo_u16_sdwa v3, v103, v3 dst_sel:DWORD dst_unused:UNUSED_PAD src0_sel:BYTE_0 src1_sel:DWORD
	v_sub_u16_sdwa v4, v103, v3 dst_sel:DWORD dst_unused:UNUSED_PAD src0_sel:DWORD src1_sel:BYTE_1
	v_lshrrev_b16_e32 v4, 1, v4
	v_and_b32_e32 v4, 0x7f, v4
	v_add_u16_sdwa v3, v4, v3 dst_sel:DWORD dst_unused:UNUSED_PAD src0_sel:DWORD src1_sel:BYTE_1
	v_lshrrev_b16_e32 v3, 2, v3
	v_mul_lo_u16_e32 v3, 7, v3
	v_sub_u16_e32 v3, v103, v3
	v_accvgpr_write_b32 a43, v3
	v_lshlrev_b16_e32 v3, 4, v3
	v_and_b32_e32 v3, 0xf0, v3
	v_lshlrev_b32_e32 v3, 3, v3
	v_accvgpr_write_b32 a0, v102
	v_accvgpr_write_b32 a2, v103
	global_load_dwordx4 v[82:85], v3, s[2:3] offset:48
	global_load_dwordx4 v[92:95], v3, s[2:3] offset:32
	;; [unrolled: 1-line block ×3, first 2 shown]
	global_load_dwordx4 v[88:91], v3, s[2:3]
	global_load_dwordx4 v[106:109], v3, s[2:3] offset:80
	global_load_dwordx4 v[102:105], v3, s[2:3] offset:64
	;; [unrolled: 1-line block ×3, first 2 shown]
	v_accvgpr_write_b32 a5, v6
	s_mov_b32 s18, 0xbeb8f4ab
	s_mov_b32 s38, 0x3f6eb680
	;; [unrolled: 1-line block ×24, first 2 shown]
	s_waitcnt lgkmcnt(8)
	v_accvgpr_write_b32 a82, v252
	v_accvgpr_write_b32 a83, v253
	s_mov_b32 s70, s46
	s_mov_b32 s71, s26
	s_mov_b32 s66, s36
	s_mov_b32 s67, s28
	s_mov_b32 s60, s52
	s_mov_b32 s61, s30
	s_mov_b32 s62, s38
	s_mov_b32 s63, s34
	s_waitcnt lgkmcnt(4)
	v_accvgpr_write_b32 a198, v236
	s_mov_b32 s74, s54
	s_mov_b32 s75, s48
	v_accvgpr_write_b32 a199, v237
	s_mov_b32 s64, s40
	s_mov_b32 s65, s50
	s_waitcnt lgkmcnt(3)
	v_accvgpr_write_b32 a253, v211
	v_accvgpr_write_b32 a252, v210
	;; [unrolled: 1-line block ×4, first 2 shown]
	s_mov_b32 s72, s44
	s_mov_b32 s73, s56
	;; [unrolled: 1-line block ×4, first 2 shown]
	v_accvgpr_write_b32 a251, v241
	v_accvgpr_write_b32 a250, v240
	s_waitcnt vmcnt(14)
	v_mov_b32_e32 v4, v135
	s_waitcnt vmcnt(12)
	v_pk_mul_f32 v[26:27], v[76:77], v[146:147] op_sel:[1,0] op_sel_hi:[0,1]
	v_pk_mul_f32 v[16:17], v[154:155], v[136:137] op_sel:[1,0] op_sel_hi:[0,1]
	s_waitcnt vmcnt(10)
	v_mov_b32_e32 v26, v115
	v_pk_mul_f32 v[4:5], v[158:159], v[4:5] op_sel:[1,0] op_sel_hi:[0,1]
	v_mov_b32_e32 v58, v27
	v_pk_mul_f32 v[26:27], v[160:161], v[26:27] op_sel:[1,0] op_sel_hi:[0,1]
	;; [unrolled: 2-line block ×3, first 2 shown]
	v_pk_fma_f32 v[232:233], v[158:159], v[134:135], v[4:5] neg_lo:[0,0,1] neg_hi:[0,0,1]
	v_pk_fma_f32 v[4:5], v[160:161], v[114:115], v[26:27] neg_lo:[0,0,1] neg_hi:[0,0,1]
	v_mov_b32_e32 v42, v17
	v_pk_mul_f32 v[16:17], v[28:29], v[16:17] op_sel:[1,0] op_sel_hi:[0,1]
	v_mov_b32_e32 v80, v41
	v_accvgpr_write_b32 a23, v5
	v_pk_fma_f32 v[224:225], v[28:29], v[138:139], v[16:17] neg_lo:[0,0,1] neg_hi:[0,0,1]
	v_accvgpr_write_b32 a22, v4
	v_pk_fma_f32 v[4:5], v[160:161], v[114:115], v[80:81] op_sel:[1,0,0] op_sel_hi:[0,1,1]
	v_mov_b32_e32 v16, v117
	v_accvgpr_write_b32 a27, v5
	v_pk_mul_f32 v[16:17], v[156:157], v[16:17] op_sel:[1,0] op_sel_hi:[0,1]
	v_accvgpr_write_b32 a26, v4
	v_pk_fma_f32 v[4:5], v[156:157], v[116:117], v[16:17] neg_lo:[0,0,1] neg_hi:[0,0,1]
	v_pk_mul_f32 v[16:17], v[156:157], v[116:117] op_sel:[1,0] op_sel_hi:[0,1]
	v_accvgpr_write_b32 a53, v5
	v_mov_b32_e32 v16, v17
	v_accvgpr_write_b32 a52, v4
	v_pk_fma_f32 v[4:5], v[156:157], v[116:117], v[16:17] op_sel:[1,0,0] op_sel_hi:[0,1,1]
	s_waitcnt vmcnt(9)
	v_mov_b32_e32 v16, v119
	v_accvgpr_write_b32 a61, v5
	v_pk_mul_f32 v[16:17], v[30:31], v[16:17] op_sel:[1,0] op_sel_hi:[0,1]
	v_accvgpr_write_b32 a60, v4
	v_pk_fma_f32 v[4:5], v[30:31], v[118:119], v[16:17] neg_lo:[0,0,1] neg_hi:[0,0,1]
	v_pk_mul_f32 v[16:17], v[30:31], v[118:119] op_sel:[1,0] op_sel_hi:[0,1]
	v_accvgpr_write_b32 a63, v5
	v_mov_b32_e32 v16, v17
	v_accvgpr_write_b32 a62, v4
	v_pk_fma_f32 v[4:5], v[30:31], v[118:119], v[16:17] op_sel:[1,0,0] op_sel_hi:[0,1,1]
	v_mov_b32_e32 v16, v121
	v_accvgpr_write_b32 a65, v5
	v_pk_mul_f32 v[16:17], v[144:145], v[16:17] op_sel:[1,0] op_sel_hi:[0,1]
	v_accvgpr_write_b32 a64, v4
	v_pk_fma_f32 v[4:5], v[144:145], v[120:121], v[16:17] neg_lo:[0,0,1] neg_hi:[0,0,1]
	v_pk_mul_f32 v[16:17], v[144:145], v[120:121] op_sel:[1,0] op_sel_hi:[0,1]
	v_accvgpr_write_b32 a69, v5
	v_mov_b32_e32 v16, v17
	v_accvgpr_write_b32 a68, v4
	v_pk_fma_f32 v[4:5], v[144:145], v[120:121], v[16:17] op_sel:[1,0,0] op_sel_hi:[0,1,1]
	s_waitcnt vmcnt(7)
	v_mov_b32_e32 v16, v123
	v_accvgpr_write_b32 a71, v5
	v_pk_mul_f32 v[16:17], v[132:133], v[16:17] op_sel:[1,0] op_sel_hi:[0,1]
	v_accvgpr_write_b32 a70, v4
	v_pk_fma_f32 v[4:5], v[132:133], v[122:123], v[16:17] neg_lo:[0,0,1] neg_hi:[0,0,1]
	v_pk_mul_f32 v[16:17], v[132:133], v[122:123] op_sel:[1,0] op_sel_hi:[0,1]
	v_accvgpr_write_b32 a75, v5
	v_mov_b32_e32 v16, v17
	v_pk_mul_f32 v[18:19], v[28:29], v[138:139] op_sel:[1,0] op_sel_hi:[0,1]
	v_accvgpr_write_b32 a74, v4
	v_pk_fma_f32 v[4:5], v[132:133], v[122:123], v[16:17] op_sel:[1,0,0] op_sel_hi:[0,1,1]
	v_mov_b32_e32 v16, v125
	v_mov_b32_e32 v44, v19
	v_accvgpr_write_b32 a203, v5
	v_pk_mul_f32 v[16:17], v[128:129], v[16:17] op_sel:[1,0] op_sel_hi:[0,1]
	v_pk_fma_f32 v[222:223], v[28:29], v[138:139], v[44:45] op_sel:[1,0,0] op_sel_hi:[0,1,1]
	v_accvgpr_write_b32 a202, v4
	v_pk_fma_f32 v[4:5], v[128:129], v[124:125], v[16:17] neg_lo:[0,0,1] neg_hi:[0,0,1]
	v_pk_mul_f32 v[16:17], v[128:129], v[124:125] op_sel:[1,0] op_sel_hi:[0,1]
	v_accvgpr_read_b32 v29, a9
	v_accvgpr_write_b32 a73, v5
	v_mov_b32_e32 v16, v17
	v_accvgpr_read_b32 v27, a7
	v_accvgpr_write_b32 a72, v4
	v_pk_fma_f32 v[4:5], v[128:129], v[124:125], v[16:17] op_sel:[1,0,0] op_sel_hi:[0,1,1]
	v_mov_b32_e32 v16, v27
	v_accvgpr_write_b32 a201, v5
	v_accvgpr_read_b32 v26, a6
	v_pk_mul_f32 v[16:17], v[78:79], v[16:17] op_sel:[1,0] op_sel_hi:[0,1]
	v_accvgpr_write_b32 a200, v4
	v_pk_fma_f32 v[4:5], v[78:79], v[26:27], v[16:17] neg_lo:[0,0,1] neg_hi:[0,0,1]
	v_pk_mul_f32 v[16:17], v[78:79], v[26:27] op_sel:[1,0] op_sel_hi:[0,1]
	v_accvgpr_write_b32 a205, v5
	v_mov_b32_e32 v16, v17
	v_pk_mul_f32 v[20:21], v[142:143], v[140:141] op_sel:[1,0] op_sel_hi:[0,1]
	v_accvgpr_write_b32 a204, v4
	v_pk_fma_f32 v[4:5], v[78:79], v[26:27], v[16:17] op_sel:[1,0,0] op_sel_hi:[0,1,1]
	v_mov_b32_e32 v18, v141
	v_mov_b32_e32 v20, v185
	v_accvgpr_write_b32 a207, v5
	s_waitcnt vmcnt(3)
	v_pk_mul_f32 v[14:15], v[14:15], v[88:89] op_sel_hi:[0,1]
	v_pk_mul_f32 v[18:19], v[142:143], v[18:19] op_sel:[1,0] op_sel_hi:[0,1]
	v_mov_b32_e32 v46, v21
	v_pk_mul_f32 v[20:21], v[130:131], v[20:21] op_sel:[1,0] op_sel_hi:[0,1]
	v_accvgpr_write_b32 a206, v4
	v_pk_fma_f32 v[4:5], v[190:191], v[88:89], v[14:15] op_sel:[0,0,1] op_sel_hi:[1,1,0] neg_lo:[0,0,1] neg_hi:[0,0,1]
	v_pk_fma_f32 v[14:15], v[190:191], v[88:89], v[14:15] op_sel:[0,0,1] op_sel_hi:[0,1,0]
	v_pk_mul_f32 v[12:13], v[12:13], v[90:91] op_sel_hi:[0,1]
	v_pk_fma_f32 v[220:221], v[142:143], v[140:141], v[18:19] neg_lo:[0,0,1] neg_hi:[0,0,1]
	v_pk_fma_f32 v[216:217], v[130:131], v[184:185], v[20:21] neg_lo:[0,0,1] neg_hi:[0,0,1]
	global_load_dwordx4 v[18:21], v3, s[2:3] offset:96
	v_mov_b32_e32 v5, v15
	v_pk_fma_f32 v[14:15], v[72:73], v[90:91], v[12:13] op_sel:[0,0,1] op_sel_hi:[1,1,0] neg_lo:[0,0,1] neg_hi:[0,0,1]
	buffer_store_dword v88, off, s[76:79], 0 offset:260 ; 4-byte Folded Spill
	s_nop 0
	buffer_store_dword v89, off, s[76:79], 0 offset:264 ; 4-byte Folded Spill
	buffer_store_dword v90, off, s[76:79], 0 offset:268 ; 4-byte Folded Spill
	;; [unrolled: 1-line block ×3, first 2 shown]
	s_waitcnt vmcnt(5)
	v_pk_mul_f32 v[10:11], v[10:11], v[110:111] op_sel_hi:[0,1]
	v_pk_mul_f32 v[8:9], v[8:9], v[112:113] op_sel_hi:[0,1]
	;; [unrolled: 1-line block ×3, first 2 shown]
	v_pk_mul_f32 v[22:23], v[130:131], v[184:185] op_sel:[1,0] op_sel_hi:[0,1]
	v_mov_b32_e32 v22, v187
	v_mov_b32_e32 v52, v23
	v_pk_mul_f32 v[22:23], v[126:127], v[22:23] op_sel:[1,0] op_sel_hi:[0,1]
	v_pk_fma_f32 v[214:215], v[130:131], v[184:185], v[52:53] op_sel:[1,0,0] op_sel_hi:[0,1,1]
	v_pk_fma_f32 v[130:131], v[126:127], v[186:187], v[22:23] neg_lo:[0,0,1] neg_hi:[0,0,1]
	v_pk_mul_f32 v[6:7], v[158:159], v[134:135] op_sel:[1,0] op_sel_hi:[0,1]
	v_pk_mul_f32 v[24:25], v[126:127], v[186:187] op_sel:[1,0] op_sel_hi:[0,1]
	v_mov_b32_e32 v40, v7
	v_mov_b32_e32 v6, v137
	v_mov_b32_e32 v24, v147
	v_pk_fma_f32 v[230:231], v[158:159], v[134:135], v[40:41] op_sel:[1,0,0] op_sel_hi:[0,1,1]
	v_pk_mul_f32 v[6:7], v[154:155], v[6:7] op_sel:[1,0] op_sel_hi:[0,1]
	v_pk_mul_f32 v[56:57], v[76:77], v[24:25] op_sel:[1,0] op_sel_hi:[0,1]
	v_pk_fma_f32 v[228:229], v[154:155], v[136:137], v[6:7] neg_lo:[0,0,1] neg_hi:[0,0,1]
	v_pk_fma_f32 v[6:7], v[76:77], v[146:147], v[56:57] neg_lo:[0,0,1] neg_hi:[0,0,1]
	v_pk_fma_f32 v[86:87], v[76:77], v[146:147], v[58:59] op_sel:[1,0,0] op_sel_hi:[0,1,1]
	v_pk_fma_f32 v[226:227], v[154:155], v[136:137], v[42:43] op_sel:[1,0,0] op_sel_hi:[0,1,1]
	v_accvgpr_read_b32 v28, a8
	v_pk_fma_f32 v[218:219], v[142:143], v[140:141], v[46:47] op_sel:[1,0,0] op_sel_hi:[0,1,1]
	v_accvgpr_mov_b32 a193, a9
	v_accvgpr_mov_b32 a192, a8
	v_accvgpr_mov_b32 a191, a7
	v_accvgpr_mov_b32 a190, a6
	v_mov_b32_e32 v54, v25
	v_pk_fma_f32 v[24:25], v[126:127], v[186:187], v[54:55] op_sel:[1,0,0] op_sel_hi:[0,1,1]
	v_accvgpr_write_b32 a76, v82
	v_accvgpr_write_b32 a77, v83
	v_accvgpr_write_b32 a78, v84
	v_accvgpr_write_b32 a79, v85
	v_accvgpr_write_b32 a7, v5
	v_accvgpr_write_b32 a6, v4
	v_accvgpr_write_b32 a170, v148
	v_accvgpr_write_b32 a169, v147
	v_accvgpr_write_b32 a168, v146
	v_accvgpr_write_b32 a135, v125
	v_accvgpr_write_b32 a134, v124
	v_accvgpr_write_b32 a133, v123
	v_accvgpr_write_b32 a132, v122
	v_accvgpr_write_b32 a100, v110
	v_accvgpr_write_b32 a101, v111
	v_accvgpr_write_b32 a102, v112
	v_accvgpr_write_b32 a103, v113
	v_accvgpr_write_b32 a167, v141
	v_accvgpr_write_b32 a166, v140
	v_accvgpr_write_b32 a165, v139
	v_accvgpr_write_b32 a164, v138
	v_accvgpr_write_b32 a92, v102
	v_accvgpr_write_b32 a93, v103
	v_accvgpr_write_b32 a94, v104
	v_accvgpr_write_b32 a95, v105
	v_accvgpr_write_b32 a84, v92
	v_accvgpr_write_b32 a85, v93
	v_accvgpr_write_b32 a86, v94
	v_accvgpr_write_b32 a87, v95
	v_accvgpr_write_b32 a172, v184
	v_accvgpr_write_b32 a173, v185
	v_accvgpr_write_b32 a174, v186
	v_accvgpr_write_b32 a175, v187
	v_accvgpr_write_b32 a88, v98
	v_accvgpr_write_b32 a89, v99
	v_accvgpr_write_b32 a90, v100
	v_accvgpr_write_b32 a91, v101
	v_accvgpr_write_b32 a119, v117
	v_accvgpr_write_b32 a118, v116
	v_accvgpr_write_b32 a117, v115
	v_accvgpr_write_b32 a116, v114
	v_accvgpr_write_b32 a96, v106
	v_accvgpr_write_b32 a97, v107
	v_accvgpr_write_b32 a98, v108
	v_accvgpr_write_b32 a99, v109
	v_accvgpr_write_b32 a123, v121
	v_accvgpr_write_b32 a122, v120
	v_pk_fma_f32 v[12:13], v[72:73], v[90:91], v[12:13] op_sel:[0,0,1] op_sel_hi:[0,1,0]
	v_mov_b32_e32 v15, v13
	v_pk_fma_f32 v[12:13], v[38:39], v[110:111], v[10:11] op_sel:[0,0,1] op_sel_hi:[1,1,0] neg_lo:[0,0,1] neg_hi:[0,0,1]
	v_pk_fma_f32 v[10:11], v[38:39], v[110:111], v[10:11] op_sel:[0,0,1] op_sel_hi:[0,1,0]
	v_mov_b32_e32 v13, v11
	v_pk_fma_f32 v[10:11], v[162:163], v[112:113], v[8:9] op_sel:[0,0,1] op_sel_hi:[1,1,0] neg_lo:[0,0,1] neg_hi:[0,0,1]
	;; [unrolled: 3-line block ×3, first 2 shown]
	v_pk_fma_f32 v[2:3], v[74:75], v[98:99], v[2:3] op_sel:[0,0,1] op_sel_hi:[0,1,0]
	v_mov_b32_e32 v9, v3
	v_pk_mul_f32 v[2:3], v[0:1], v[100:101] op_sel_hi:[0,1]
	v_pk_fma_f32 v[16:17], v[68:69], v[100:101], v[2:3] op_sel:[0,0,1] op_sel_hi:[1,1,0] neg_lo:[0,0,1] neg_hi:[0,0,1]
	v_pk_fma_f32 v[2:3], v[68:69], v[100:101], v[2:3] op_sel:[0,0,1] op_sel_hi:[0,1,0]
	v_mov_b32_e32 v17, v3
	v_pk_mul_f32 v[2:3], v[182:183], v[92:93] op_sel_hi:[0,1]
	v_pk_fma_f32 v[22:23], v[70:71], v[92:93], v[2:3] op_sel:[0,0,1] op_sel_hi:[1,1,0] neg_lo:[0,0,1] neg_hi:[0,0,1]
	;; [unrolled: 4-line block ×9, first 2 shown]
	v_pk_fma_f32 v[2:3], v[32:33], v[108:109], v[2:3] op_sel:[0,0,1] op_sel_hi:[0,1,0]
	v_mov_b32_e32 v27, v3
	s_waitcnt vmcnt(4)
	v_pk_mul_f32 v[2:3], v[170:171], v[18:19] op_sel_hi:[0,1]
	v_pk_fma_f32 v[28:29], v[34:35], v[18:19], v[2:3] op_sel:[0,0,1] op_sel_hi:[1,1,0] neg_lo:[0,0,1] neg_hi:[0,0,1]
	v_pk_fma_f32 v[2:3], v[34:35], v[18:19], v[2:3] op_sel:[0,0,1] op_sel_hi:[0,1,0]
	v_mov_b32_e32 v29, v3
	v_pk_mul_f32 v[2:3], v[168:169], v[20:21] op_sel_hi:[0,1]
	v_pk_fma_f32 v[46:47], v[36:37], v[20:21], v[2:3] op_sel:[0,0,1] op_sel_hi:[1,1,0] neg_lo:[0,0,1] neg_hi:[0,0,1]
	v_pk_fma_f32 v[2:3], v[36:37], v[20:21], v[2:3] op_sel:[0,0,1] op_sel_hi:[0,1,0]
	v_pk_add_f32 v[68:69], v[4:5], v[10:11] neg_lo:[0,1] neg_hi:[0,1]
	v_mov_b32_e32 v47, v3
	v_pk_add_f32 v[62:63], v[4:5], v[10:11]
	v_accvgpr_write_b32 a12, v12
	v_pk_add_f32 v[72:73], v[14:15], v[12:13] neg_lo:[0,1] neg_hi:[0,1]
	v_accvgpr_write_b32 a19, v9
	v_pk_mul_f32 v[2:3], v[68:69], s[18:19] op_sel:[1,0] op_sel_hi:[0,0]
	v_accvgpr_write_b32 a107, v21
	v_accvgpr_write_b32 a15, v11
	v_pk_add_f32 v[70:71], v[14:15], v[12:13]
	v_accvgpr_write_b32 a8, v14
	v_accvgpr_write_b32 a13, v13
	v_pk_add_f32 v[50:51], v[8:9], v[46:47]
	v_accvgpr_write_b32 a18, v8
	v_pk_add_f32 v[64:65], v[8:9], v[46:47] neg_lo:[0,1] neg_hi:[0,1]
	v_pk_fma_f32 v[8:9], v[62:63], s[38:39], v[2:3] op_sel_hi:[1,0,1]
	v_pk_fma_f32 v[2:3], v[62:63], s[38:39], v[2:3] op_sel_hi:[1,0,1] neg_lo:[0,0,1] neg_hi:[0,0,1]
	v_pk_mul_f32 v[12:13], v[72:73], s[14:15] op_sel:[1,0] op_sel_hi:[0,0]
	v_accvgpr_write_b32 a106, v20
	v_accvgpr_write_b32 a105, v19
	;; [unrolled: 1-line block ×6, first 2 shown]
	v_pk_add_f32 v[66:67], v[16:17], v[28:29] neg_lo:[0,1] neg_hi:[0,1]
	v_accvgpr_write_b32 a20, v26
	v_mov_b32_e32 v11, v3
	v_pk_fma_f32 v[14:15], v[70:71], s[40:41], v[12:13] op_sel_hi:[1,0,1]
	v_pk_fma_f32 v[12:13], v[70:71], s[40:41], v[12:13] op_sel_hi:[1,0,1] neg_lo:[0,0,1] neg_hi:[0,0,1]
	v_pk_mul_f32 v[18:19], v[64:65], s[12:13] op_sel:[1,0] op_sel_hi:[0,0]
	v_mov_b32_e32 v3, v9
	v_pk_add_f32 v[60:61], v[16:17], v[28:29]
	v_accvgpr_write_b32 a24, v16
	v_accvgpr_write_b32 a59, v29
	v_pk_add_f32 v[36:37], v[22:23], v[26:27]
	v_accvgpr_write_b32 a35, v23
	v_accvgpr_write_b32 a21, v27
	v_pk_add_f32 v[48:49], v[22:23], v[26:27] neg_lo:[0,1] neg_hi:[0,1]
	v_mov_b32_e32 v17, v13
	v_pk_fma_f32 v[20:21], v[50:51], s[52:53], v[18:19] op_sel_hi:[1,0,1]
	v_pk_fma_f32 v[18:19], v[50:51], s[52:53], v[18:19] op_sel_hi:[1,0,1] neg_lo:[0,0,1] neg_hi:[0,0,1]
	v_pk_mul_f32 v[26:27], v[66:67], s[16:17] op_sel:[1,0] op_sel_hi:[0,0]
	v_pk_add_f32 v[2:3], v[188:189], v[2:3]
	v_mov_b32_e32 v13, v15
	v_accvgpr_write_b32 a58, v28
	v_accvgpr_write_b32 a34, v22
	v_mov_b32_e32 v23, v19
	v_pk_fma_f32 v[28:29], v[60:61], s[42:43], v[26:27] op_sel_hi:[1,0,1]
	v_pk_fma_f32 v[26:27], v[60:61], s[42:43], v[26:27] op_sel_hi:[1,0,1] neg_lo:[0,0,1] neg_hi:[0,0,1]
	v_pk_add_f32 v[2:3], v[12:13], v[2:3]
	v_mov_b32_e32 v19, v21
	v_pk_mul_f32 v[12:13], v[48:49], s[8:9] op_sel:[1,0] op_sel_hi:[0,0]
	v_mov_b32_e32 v9, v27
	v_pk_add_f32 v[2:3], v[18:19], v[2:3]
	v_mov_b32_e32 v27, v29
	v_pk_fma_f32 v[18:19], v[36:37], s[36:37], v[12:13] op_sel_hi:[1,0,1]
	v_pk_fma_f32 v[12:13], v[36:37], s[36:37], v[12:13] op_sel_hi:[1,0,1] neg_lo:[0,0,1] neg_hi:[0,0,1]
	v_pk_add_f32 v[2:3], v[26:27], v[2:3]
	v_mov_b32_e32 v15, v13
	v_mov_b32_e32 v13, v19
	v_pk_add_f32 v[132:133], v[30:31], v[44:45] neg_lo:[0,1] neg_hi:[0,1]
	v_pk_add_f32 v[2:3], v[12:13], v[2:3]
	v_pk_add_f32 v[78:79], v[30:31], v[44:45]
	v_pk_mul_f32 v[12:13], v[132:133], s[20:21] op_sel:[1,0] op_sel_hi:[0,0]
	v_pk_fma_f32 v[26:27], v[78:79], s[44:45], v[12:13] op_sel_hi:[1,0,1]
	v_pk_fma_f32 v[12:13], v[78:79], s[44:45], v[12:13] op_sel_hi:[1,0,1] neg_lo:[0,0,1] neg_hi:[0,0,1]
	v_mov_b32_e32 v19, v13
	v_mov_b32_e32 v13, v27
	v_pk_add_f32 v[128:129], v[40:41], v[42:43] neg_lo:[0,1] neg_hi:[0,1]
	v_accvgpr_write_b32 a41, v31
	v_pk_add_f32 v[2:3], v[12:13], v[2:3]
	v_pk_add_f32 v[74:75], v[40:41], v[42:43]
	v_pk_mul_f32 v[12:13], v[128:129], s[22:23] op_sel:[1,0] op_sel_hi:[0,0]
	v_accvgpr_write_b32 a40, v30
	v_pk_fma_f32 v[30:31], v[74:75], s[46:47], v[12:13] op_sel_hi:[1,0,1]
	v_pk_fma_f32 v[12:13], v[74:75], s[46:47], v[12:13] op_sel_hi:[1,0,1] neg_lo:[0,0,1] neg_hi:[0,0,1]
	v_mov_b32_e32 v21, v13
	v_mov_b32_e32 v13, v31
	v_accvgpr_write_b32 a45, v41
	v_accvgpr_write_b32 a55, v43
	v_pk_add_f32 v[2:3], v[12:13], v[2:3]
	v_pk_mul_f32 v[12:13], v[68:69], s[14:15] op_sel:[1,0] op_sel_hi:[0,0]
	v_accvgpr_write_b32 a57, v45
	v_accvgpr_write_b32 a44, v40
	;; [unrolled: 1-line block ×3, first 2 shown]
	v_pk_fma_f32 v[40:41], v[62:63], s[40:41], v[12:13] op_sel_hi:[1,0,1]
	v_pk_fma_f32 v[12:13], v[62:63], s[40:41], v[12:13] op_sel_hi:[1,0,1] neg_lo:[0,0,1] neg_hi:[0,0,1]
	v_pk_mul_f32 v[42:43], v[72:73], s[16:17] op_sel:[1,0] op_sel_hi:[0,0]
	v_accvgpr_write_b32 a56, v44
	v_pk_fma_f32 v[44:45], v[70:71], s[42:43], v[42:43] op_sel_hi:[1,0,1]
	v_pk_fma_f32 v[42:43], v[70:71], s[42:43], v[42:43] op_sel_hi:[1,0,1] neg_lo:[0,0,1] neg_hi:[0,0,1]
	v_mov_b32_e32 v27, v13
	v_mov_b32_e32 v13, v41
	v_pk_add_f32 v[12:13], v[188:189], v[12:13]
	v_mov_b32_e32 v29, v43
	v_mov_b32_e32 v43, v45
	v_accvgpr_write_b32 a67, v47
	v_pk_add_f32 v[12:13], v[42:43], v[12:13]
	v_pk_mul_f32 v[42:43], v[64:65], s[20:21] op_sel:[1,0] op_sel_hi:[0,0]
	v_accvgpr_write_b32 a66, v46
	v_pk_fma_f32 v[46:47], v[50:51], s[44:45], v[42:43] op_sel_hi:[1,0,1]
	v_pk_fma_f32 v[42:43], v[50:51], s[44:45], v[42:43] op_sel_hi:[1,0,1] neg_lo:[0,0,1] neg_hi:[0,0,1]
	v_mov_b32_e32 v31, v43
	v_mov_b32_e32 v43, v47
	v_pk_add_f32 v[12:13], v[42:43], v[12:13]
	v_pk_mul_f32 v[42:43], v[66:67], s[24:25] op_sel:[1,0] op_sel_hi:[0,0]
	v_pk_fma_f32 v[52:53], v[60:61], s[54:55], v[42:43] op_sel_hi:[1,0,1]
	v_pk_fma_f32 v[42:43], v[60:61], s[54:55], v[42:43] op_sel_hi:[1,0,1] neg_lo:[0,0,1] neg_hi:[0,0,1]
	v_mov_b32_e32 v41, v43
	v_mov_b32_e32 v43, v53
	v_pk_add_f32 v[12:13], v[42:43], v[12:13]
	v_pk_mul_f32 v[42:43], v[48:49], s[26:27] op_sel:[1,0] op_sel_hi:[0,0]
	;; [unrolled: 6-line block ×3, first 2 shown]
	v_pk_fma_f32 v[56:57], v[78:79], s[36:37], v[42:43] op_sel_hi:[1,0,1]
	v_pk_fma_f32 v[42:43], v[78:79], s[36:37], v[42:43] op_sel_hi:[1,0,1] neg_lo:[0,0,1] neg_hi:[0,0,1]
	v_mov_b32_e32 v10, v8
	v_mov_b32_e32 v47, v43
	;; [unrolled: 1-line block ×4, first 2 shown]
	v_pk_add_f32 v[10:11], v[188:189], v[10:11]
	v_pk_add_f32 v[12:13], v[42:43], v[12:13]
	v_pk_mul_f32 v[42:43], v[128:129], s[30:31] op_sel:[1,0] op_sel_hi:[0,0]
	v_pk_add_f32 v[10:11], v[16:17], v[10:11]
	v_mov_b32_e32 v22, v20
	v_pk_fma_f32 v[58:59], v[74:75], s[52:53], v[42:43] op_sel_hi:[1,0,1]
	v_pk_fma_f32 v[42:43], v[74:75], s[52:53], v[42:43] op_sel_hi:[1,0,1] neg_lo:[0,0,1] neg_hi:[0,0,1]
	v_pk_add_f32 v[10:11], v[22:23], v[10:11]
	v_mov_b32_e32 v8, v28
	v_mov_b32_e32 v14, v18
	v_mov_b32_e32 v18, v26
	v_mov_b32_e32 v26, v40
	v_mov_b32_e32 v53, v43
	v_mov_b32_e32 v43, v59
	v_pk_add_f32 v[168:169], v[76:77], v[80:81] neg_lo:[0,1] neg_hi:[0,1]
	v_pk_add_f32 v[8:9], v[8:9], v[10:11]
	v_mov_b32_e32 v28, v44
	v_pk_add_f32 v[10:11], v[188:189], v[26:27]
	v_pk_add_f32 v[12:13], v[42:43], v[12:13]
	;; [unrolled: 1-line block ×3, first 2 shown]
	v_accvgpr_write_b32 a48, v80
	v_pk_mul_f32 v[42:43], v[168:169], s[24:25] op_sel:[1,0] op_sel_hi:[0,0]
	v_mov_b32_e32 v20, v30
	v_pk_add_f32 v[10:11], v[28:29], v[10:11]
	v_mov_b32_e32 v30, v46
	v_accvgpr_write_b32 a49, v81
	v_pk_fma_f32 v[80:81], v[144:145], s[54:55], v[42:43] op_sel_hi:[1,0,1] neg_lo:[0,0,1] neg_hi:[0,0,1]
	v_pk_fma_f32 v[42:43], v[144:145], s[54:55], v[42:43] op_sel_hi:[1,0,1]
	v_pk_add_f32 v[10:11], v[30:31], v[10:11]
	v_mov_b32_e32 v40, v52
	v_mov_b32_e32 v82, v80
	;; [unrolled: 1-line block ×3, first 2 shown]
	v_pk_add_f32 v[8:9], v[14:15], v[8:9]
	v_pk_add_f32 v[10:11], v[40:41], v[10:11]
	v_mov_b32_e32 v44, v54
	v_pk_add_f32 v[88:89], v[82:83], v[2:3]
	v_pk_mul_f32 v[2:3], v[168:169], s[34:35] op_sel:[1,0] op_sel_hi:[0,0]
	v_pk_add_f32 v[8:9], v[18:19], v[8:9]
	v_pk_add_f32 v[10:11], v[44:45], v[10:11]
	v_mov_b32_e32 v46, v56
	v_pk_fma_f32 v[82:83], v[144:145], s[38:39], v[2:3] op_sel_hi:[1,0,1] neg_lo:[0,0,1] neg_hi:[0,0,1]
	v_pk_fma_f32 v[2:3], v[144:145], s[38:39], v[2:3] op_sel_hi:[1,0,1]
	v_pk_add_f32 v[8:9], v[20:21], v[8:9]
	v_mov_b32_e32 v43, v81
	v_pk_add_f32 v[10:11], v[46:47], v[10:11]
	v_mov_b32_e32 v52, v58
	v_mov_b32_e32 v85, v3
	v_pk_add_f32 v[10:11], v[52:53], v[10:11]
	v_mov_b32_e32 v3, v83
	v_pk_add_f32 v[4:5], v[42:43], v[8:9]
	v_pk_add_f32 v[2:3], v[2:3], v[10:11]
	v_accvgpr_write_b32 a115, v5
	v_accvgpr_write_b32 a114, v4
	;; [unrolled: 1-line block ×4, first 2 shown]
	v_pk_mul_f32 v[2:3], v[68:69], s[12:13] op_sel:[1,0] op_sel_hi:[0,0]
	v_mov_b32_e32 v84, v82
	v_pk_fma_f32 v[8:9], v[62:63], s[52:53], v[2:3] op_sel_hi:[1,0,1]
	v_pk_fma_f32 v[2:3], v[62:63], s[52:53], v[2:3] op_sel_hi:[1,0,1] neg_lo:[0,0,1] neg_hi:[0,0,1]
	v_pk_mul_f32 v[10:11], v[72:73], s[20:21] op_sel:[1,0] op_sel_hi:[0,0]
	v_pk_add_f32 v[90:91], v[84:85], v[12:13]
	v_pk_fma_f32 v[12:13], v[70:71], s[44:45], v[10:11] op_sel_hi:[1,0,1]
	v_pk_fma_f32 v[10:11], v[70:71], s[44:45], v[10:11] op_sel_hi:[1,0,1] neg_lo:[0,0,1] neg_hi:[0,0,1]
	v_mov_b32_e32 v15, v3
	v_mov_b32_e32 v3, v9
	v_pk_add_f32 v[2:3], v[188:189], v[2:3]
	v_mov_b32_e32 v9, v11
	v_mov_b32_e32 v11, v13
	v_pk_add_f32 v[2:3], v[10:11], v[2:3]
	v_pk_mul_f32 v[10:11], v[64:65], s[48:49] op_sel:[1,0] op_sel_hi:[0,0]
	v_pk_fma_f32 v[16:17], v[50:51], s[54:55], v[10:11] op_sel_hi:[1,0,1]
	v_pk_fma_f32 v[10:11], v[50:51], s[54:55], v[10:11] op_sel_hi:[1,0,1] neg_lo:[0,0,1] neg_hi:[0,0,1]
	v_mov_b32_e32 v13, v11
	v_mov_b32_e32 v11, v17
	v_pk_add_f32 v[2:3], v[10:11], v[2:3]
	v_pk_mul_f32 v[10:11], v[66:67], s[28:29] op_sel:[1,0] op_sel_hi:[0,0]
	v_pk_fma_f32 v[18:19], v[60:61], s[36:37], v[10:11] op_sel_hi:[1,0,1]
	v_pk_fma_f32 v[10:11], v[60:61], s[36:37], v[10:11] op_sel_hi:[1,0,1] neg_lo:[0,0,1] neg_hi:[0,0,1]
	v_mov_b32_e32 v17, v11
	v_mov_b32_e32 v11, v19
	v_pk_add_f32 v[2:3], v[10:11], v[2:3]
	v_pk_mul_f32 v[10:11], v[48:49], s[50:51] op_sel:[1,0] op_sel_hi:[0,0]
	v_pk_fma_f32 v[20:21], v[36:37], s[40:41], v[10:11] op_sel_hi:[1,0,1]
	v_pk_fma_f32 v[10:11], v[36:37], s[40:41], v[10:11] op_sel_hi:[1,0,1] neg_lo:[0,0,1] neg_hi:[0,0,1]
	v_mov_b32_e32 v19, v11
	v_mov_b32_e32 v11, v21
	v_pk_add_f32 v[2:3], v[10:11], v[2:3]
	v_pk_mul_f32 v[10:11], v[132:133], s[18:19] op_sel:[1,0] op_sel_hi:[0,0]
	v_pk_fma_f32 v[22:23], v[78:79], s[38:39], v[10:11] op_sel_hi:[1,0,1]
	v_pk_fma_f32 v[10:11], v[78:79], s[38:39], v[10:11] op_sel_hi:[1,0,1] neg_lo:[0,0,1] neg_hi:[0,0,1]
	v_mov_b32_e32 v21, v11
	v_mov_b32_e32 v11, v23
	v_pk_add_f32 v[2:3], v[10:11], v[2:3]
	v_pk_mul_f32 v[10:11], v[128:129], s[16:17] op_sel:[1,0] op_sel_hi:[0,0]
	v_pk_fma_f32 v[26:27], v[74:75], s[42:43], v[10:11] op_sel_hi:[1,0,1]
	v_pk_fma_f32 v[10:11], v[74:75], s[42:43], v[10:11] op_sel_hi:[1,0,1] neg_lo:[0,0,1] neg_hi:[0,0,1]
	v_mov_b32_e32 v23, v11
	v_mov_b32_e32 v11, v27
	v_pk_add_f32 v[2:3], v[10:11], v[2:3]
	v_pk_mul_f32 v[10:11], v[68:69], s[16:17] op_sel:[1,0] op_sel_hi:[0,0]
	v_pk_fma_f32 v[28:29], v[62:63], s[42:43], v[10:11] op_sel_hi:[1,0,1]
	v_pk_fma_f32 v[10:11], v[62:63], s[42:43], v[10:11] op_sel_hi:[1,0,1] neg_lo:[0,0,1] neg_hi:[0,0,1]
	v_pk_mul_f32 v[30:31], v[72:73], s[24:25] op_sel:[1,0] op_sel_hi:[0,0]
	v_pk_fma_f32 v[40:41], v[70:71], s[54:55], v[30:31] op_sel_hi:[1,0,1]
	v_pk_fma_f32 v[30:31], v[70:71], s[54:55], v[30:31] op_sel_hi:[1,0,1] neg_lo:[0,0,1] neg_hi:[0,0,1]
	v_mov_b32_e32 v27, v11
	v_mov_b32_e32 v11, v29
	v_pk_add_f32 v[10:11], v[188:189], v[10:11]
	v_mov_b32_e32 v29, v31
	v_mov_b32_e32 v31, v41
	v_pk_add_f32 v[10:11], v[30:31], v[10:11]
	v_pk_mul_f32 v[30:31], v[64:65], s[28:29] op_sel:[1,0] op_sel_hi:[0,0]
	v_pk_fma_f32 v[42:43], v[50:51], s[36:37], v[30:31] op_sel_hi:[1,0,1]
	v_pk_fma_f32 v[30:31], v[50:51], s[36:37], v[30:31] op_sel_hi:[1,0,1] neg_lo:[0,0,1] neg_hi:[0,0,1]
	v_mov_b32_e32 v41, v31
	v_mov_b32_e32 v31, v43
	v_pk_add_f32 v[10:11], v[30:31], v[10:11]
	v_pk_mul_f32 v[30:31], v[66:67], s[34:35] op_sel:[1,0] op_sel_hi:[0,0]
	v_pk_fma_f32 v[44:45], v[60:61], s[38:39], v[30:31] op_sel_hi:[1,0,1]
	v_pk_fma_f32 v[30:31], v[60:61], s[38:39], v[30:31] op_sel_hi:[1,0,1] neg_lo:[0,0,1] neg_hi:[0,0,1]
	;; [unrolled: 6-line block ×5, first 2 shown]
	v_mov_b32_e32 v53, v31
	v_mov_b32_e32 v31, v55
	v_pk_add_f32 v[10:11], v[30:31], v[10:11]
	v_pk_mul_f32 v[30:31], v[168:169], s[22:23] op_sel:[1,0] op_sel_hi:[0,0]
	v_pk_fma_f32 v[56:57], v[144:145], s[46:47], v[30:31] op_sel_hi:[1,0,1] neg_lo:[0,0,1] neg_hi:[0,0,1]
	v_pk_fma_f32 v[30:31], v[144:145], s[46:47], v[30:31] op_sel_hi:[1,0,1]
	v_mov_b32_e32 v58, v56
	v_mov_b32_e32 v59, v31
	v_pk_add_f32 v[82:83], v[58:59], v[2:3]
	v_pk_mul_f32 v[2:3], v[168:169], s[50:51] op_sel:[1,0] op_sel_hi:[0,0]
	v_pk_fma_f32 v[58:59], v[144:145], s[40:41], v[2:3] op_sel_hi:[1,0,1] neg_lo:[0,0,1] neg_hi:[0,0,1]
	v_pk_fma_f32 v[2:3], v[144:145], s[40:41], v[2:3] op_sel_hi:[1,0,1]
	v_mov_b32_e32 v80, v58
	v_mov_b32_e32 v81, v3
	;; [unrolled: 1-line block ×3, first 2 shown]
	v_pk_add_f32 v[84:85], v[80:81], v[10:11]
	v_mov_b32_e32 v8, v12
	v_pk_add_f32 v[10:11], v[188:189], v[14:15]
	v_mov_b32_e32 v12, v16
	v_mov_b32_e32 v16, v18
	v_mov_b32_e32 v18, v20
	v_mov_b32_e32 v20, v22
	v_mov_b32_e32 v22, v26
	v_mov_b32_e32 v26, v28
	v_pk_add_f32 v[8:9], v[8:9], v[10:11]
	v_mov_b32_e32 v28, v40
	v_pk_add_f32 v[10:11], v[188:189], v[26:27]
	v_pk_add_f32 v[8:9], v[12:13], v[8:9]
	;; [unrolled: 1-line block ×3, first 2 shown]
	v_mov_b32_e32 v40, v42
	v_pk_add_f32 v[8:9], v[16:17], v[8:9]
	v_pk_add_f32 v[10:11], v[40:41], v[10:11]
	v_mov_b32_e32 v42, v44
	v_pk_add_f32 v[8:9], v[18:19], v[8:9]
	v_pk_add_f32 v[10:11], v[42:43], v[10:11]
	;; [unrolled: 3-line block ×3, first 2 shown]
	v_mov_b32_e32 v46, v52
	v_pk_add_f32 v[8:9], v[22:23], v[8:9]
	v_mov_b32_e32 v31, v57
	v_pk_add_f32 v[10:11], v[46:47], v[10:11]
	;; [unrolled: 2-line block ×4, first 2 shown]
	v_pk_add_f32 v[2:3], v[2:3], v[10:11]
	v_accvgpr_write_b32 a139, v5
	v_accvgpr_write_b32 a138, v4
	;; [unrolled: 1-line block ×4, first 2 shown]
	v_pk_mul_f32 v[2:3], v[68:69], s[8:9] op_sel:[1,0] op_sel_hi:[0,0]
	v_pk_fma_f32 v[8:9], v[62:63], s[36:37], v[2:3] op_sel_hi:[1,0,1]
	v_pk_fma_f32 v[2:3], v[62:63], s[36:37], v[2:3] op_sel_hi:[1,0,1] neg_lo:[0,0,1] neg_hi:[0,0,1]
	v_pk_mul_f32 v[10:11], v[72:73], s[26:27] op_sel:[1,0] op_sel_hi:[0,0]
	v_pk_fma_f32 v[12:13], v[70:71], s[46:47], v[10:11] op_sel_hi:[1,0,1]
	v_pk_fma_f32 v[10:11], v[70:71], s[46:47], v[10:11] op_sel_hi:[1,0,1] neg_lo:[0,0,1] neg_hi:[0,0,1]
	v_mov_b32_e32 v15, v3
	v_mov_b32_e32 v3, v9
	v_pk_add_f32 v[2:3], v[188:189], v[2:3]
	v_mov_b32_e32 v9, v11
	v_mov_b32_e32 v11, v13
	v_pk_add_f32 v[2:3], v[10:11], v[2:3]
	v_pk_mul_f32 v[10:11], v[64:65], s[50:51] op_sel:[1,0] op_sel_hi:[0,0]
	v_pk_fma_f32 v[16:17], v[50:51], s[40:41], v[10:11] op_sel_hi:[1,0,1]
	v_pk_fma_f32 v[10:11], v[50:51], s[40:41], v[10:11] op_sel_hi:[1,0,1] neg_lo:[0,0,1] neg_hi:[0,0,1]
	v_mov_b32_e32 v13, v11
	v_mov_b32_e32 v11, v17
	v_pk_add_f32 v[2:3], v[10:11], v[2:3]
	v_pk_mul_f32 v[10:11], v[66:67], s[12:13] op_sel:[1,0] op_sel_hi:[0,0]
	v_pk_fma_f32 v[18:19], v[60:61], s[52:53], v[10:11] op_sel_hi:[1,0,1]
	v_pk_fma_f32 v[10:11], v[60:61], s[52:53], v[10:11] op_sel_hi:[1,0,1] neg_lo:[0,0,1] neg_hi:[0,0,1]
	;; [unrolled: 6-line block ×6, first 2 shown]
	v_pk_mul_f32 v[30:31], v[72:73], s[28:29] op_sel:[1,0] op_sel_hi:[0,0]
	v_pk_fma_f32 v[40:41], v[70:71], s[36:37], v[30:31] op_sel_hi:[1,0,1]
	v_pk_fma_f32 v[30:31], v[70:71], s[36:37], v[30:31] op_sel_hi:[1,0,1] neg_lo:[0,0,1] neg_hi:[0,0,1]
	v_mov_b32_e32 v27, v11
	v_mov_b32_e32 v11, v29
	v_pk_add_f32 v[10:11], v[188:189], v[10:11]
	v_mov_b32_e32 v29, v31
	v_mov_b32_e32 v31, v41
	v_pk_add_f32 v[10:11], v[30:31], v[10:11]
	v_pk_mul_f32 v[30:31], v[64:65], s[18:19] op_sel:[1,0] op_sel_hi:[0,0]
	v_pk_fma_f32 v[42:43], v[50:51], s[38:39], v[30:31] op_sel_hi:[1,0,1]
	v_pk_fma_f32 v[30:31], v[50:51], s[38:39], v[30:31] op_sel_hi:[1,0,1] neg_lo:[0,0,1] neg_hi:[0,0,1]
	v_mov_b32_e32 v41, v31
	v_mov_b32_e32 v31, v43
	v_pk_add_f32 v[10:11], v[30:31], v[10:11]
	v_pk_mul_f32 v[30:31], v[66:67], s[22:23] op_sel:[1,0] op_sel_hi:[0,0]
	v_pk_fma_f32 v[44:45], v[60:61], s[46:47], v[30:31] op_sel_hi:[1,0,1]
	v_pk_fma_f32 v[30:31], v[60:61], s[46:47], v[30:31] op_sel_hi:[1,0,1] neg_lo:[0,0,1] neg_hi:[0,0,1]
	;; [unrolled: 6-line block ×5, first 2 shown]
	v_mov_b32_e32 v53, v31
	v_mov_b32_e32 v31, v55
	v_pk_add_f32 v[10:11], v[30:31], v[10:11]
	v_pk_mul_f32 v[30:31], v[168:169], s[20:21] op_sel:[1,0] op_sel_hi:[0,0]
	v_pk_fma_f32 v[56:57], v[144:145], s[44:45], v[30:31] op_sel_hi:[1,0,1] neg_lo:[0,0,1] neg_hi:[0,0,1]
	v_pk_fma_f32 v[30:31], v[144:145], s[44:45], v[30:31] op_sel_hi:[1,0,1]
	v_accvgpr_write_b32 a127, v85
	v_mov_b32_e32 v58, v56
	v_mov_b32_e32 v59, v31
	v_accvgpr_write_b32 a126, v84
	v_accvgpr_write_b32 a125, v83
	;; [unrolled: 1-line block ×3, first 2 shown]
	v_pk_add_f32 v[82:83], v[58:59], v[2:3]
	v_pk_mul_f32 v[2:3], v[168:169], s[30:31] op_sel:[1,0] op_sel_hi:[0,0]
	v_pk_fma_f32 v[58:59], v[144:145], s[52:53], v[2:3] op_sel_hi:[1,0,1] neg_lo:[0,0,1] neg_hi:[0,0,1]
	v_pk_fma_f32 v[2:3], v[144:145], s[52:53], v[2:3] op_sel_hi:[1,0,1]
	v_mov_b32_e32 v80, v58
	v_mov_b32_e32 v81, v3
	;; [unrolled: 1-line block ×3, first 2 shown]
	v_pk_add_f32 v[84:85], v[80:81], v[10:11]
	v_mov_b32_e32 v8, v12
	v_pk_add_f32 v[10:11], v[188:189], v[14:15]
	v_mov_b32_e32 v12, v16
	v_mov_b32_e32 v16, v18
	;; [unrolled: 1-line block ×6, first 2 shown]
	v_pk_add_f32 v[8:9], v[8:9], v[10:11]
	v_mov_b32_e32 v28, v40
	v_pk_add_f32 v[10:11], v[188:189], v[26:27]
	v_pk_add_f32 v[8:9], v[12:13], v[8:9]
	;; [unrolled: 1-line block ×3, first 2 shown]
	v_mov_b32_e32 v40, v42
	v_pk_add_f32 v[8:9], v[16:17], v[8:9]
	v_pk_add_f32 v[10:11], v[40:41], v[10:11]
	v_mov_b32_e32 v42, v44
	v_pk_add_f32 v[8:9], v[18:19], v[8:9]
	v_pk_add_f32 v[10:11], v[42:43], v[10:11]
	;; [unrolled: 3-line block ×3, first 2 shown]
	v_mov_b32_e32 v46, v52
	v_pk_add_f32 v[8:9], v[22:23], v[8:9]
	v_mov_b32_e32 v31, v57
	v_pk_add_f32 v[10:11], v[46:47], v[10:11]
	;; [unrolled: 2-line block ×4, first 2 shown]
	v_pk_add_f32 v[2:3], v[2:3], v[10:11]
	v_accvgpr_write_b32 a147, v5
	v_accvgpr_write_b32 a146, v4
	;; [unrolled: 1-line block ×4, first 2 shown]
	v_pk_mul_f32 v[2:3], v[68:69], s[24:25] op_sel:[1,0] op_sel_hi:[0,0]
	v_pk_fma_f32 v[8:9], v[62:63], s[54:55], v[2:3] op_sel_hi:[1,0,1]
	v_pk_fma_f32 v[2:3], v[62:63], s[54:55], v[2:3] op_sel_hi:[1,0,1] neg_lo:[0,0,1] neg_hi:[0,0,1]
	v_pk_mul_f32 v[12:13], v[72:73], s[34:35] op_sel:[1,0] op_sel_hi:[0,0]
	v_mov_b32_e32 v10, v8
	v_mov_b32_e32 v11, v3
	v_pk_fma_f32 v[14:15], v[70:71], s[38:39], v[12:13] op_sel_hi:[1,0,1]
	v_pk_fma_f32 v[12:13], v[70:71], s[38:39], v[12:13] op_sel_hi:[1,0,1] neg_lo:[0,0,1] neg_hi:[0,0,1]
	v_pk_add_f32 v[10:11], v[188:189], v[10:11]
	v_mov_b32_e32 v16, v14
	v_mov_b32_e32 v17, v13
	v_pk_add_f32 v[10:11], v[16:17], v[10:11]
	v_pk_mul_f32 v[16:17], v[64:65], s[22:23] op_sel:[1,0] op_sel_hi:[0,0]
	v_pk_fma_f32 v[18:19], v[50:51], s[46:47], v[16:17] op_sel_hi:[1,0,1]
	v_pk_fma_f32 v[16:17], v[50:51], s[46:47], v[16:17] op_sel_hi:[1,0,1] neg_lo:[0,0,1] neg_hi:[0,0,1]
	v_mov_b32_e32 v20, v18
	v_mov_b32_e32 v21, v17
	v_pk_add_f32 v[10:11], v[20:21], v[10:11]
	v_pk_mul_f32 v[20:21], v[66:67], s[50:51] op_sel:[1,0] op_sel_hi:[0,0]
	v_pk_fma_f32 v[22:23], v[60:61], s[40:41], v[20:21] op_sel_hi:[1,0,1]
	v_pk_fma_f32 v[20:21], v[60:61], s[40:41], v[20:21] op_sel_hi:[1,0,1] neg_lo:[0,0,1] neg_hi:[0,0,1]
	;; [unrolled: 6-line block ×6, first 2 shown]
	v_pk_mul_f32 v[54:55], v[72:73], s[30:31] op_sel:[1,0] op_sel_hi:[0,0]
	v_pk_fma_f32 v[56:57], v[70:71], s[52:53], v[54:55] op_sel_hi:[1,0,1]
	v_pk_fma_f32 v[54:55], v[70:71], s[52:53], v[54:55] op_sel_hi:[1,0,1] neg_lo:[0,0,1] neg_hi:[0,0,1]
	v_mov_b32_e32 v58, v52
	v_mov_b32_e32 v59, v47
	v_pk_add_f32 v[58:59], v[188:189], v[58:59]
	v_mov_b32_e32 v62, v56
	v_mov_b32_e32 v63, v55
	v_pk_add_f32 v[58:59], v[62:63], v[58:59]
	v_pk_mul_f32 v[62:63], v[64:65], s[16:17] op_sel:[1,0] op_sel_hi:[0,0]
	v_pk_fma_f32 v[64:65], v[50:51], s[42:43], v[62:63] op_sel_hi:[1,0,1]
	v_pk_fma_f32 v[50:51], v[50:51], s[42:43], v[62:63] op_sel_hi:[1,0,1] neg_lo:[0,0,1] neg_hi:[0,0,1]
	v_mov_b32_e32 v62, v64
	v_mov_b32_e32 v63, v51
	v_pk_add_f32 v[58:59], v[62:63], v[58:59]
	v_pk_mul_f32 v[62:63], v[66:67], s[56:57] op_sel:[1,0] op_sel_hi:[0,0]
	v_pk_fma_f32 v[66:67], v[60:61], s[44:45], v[62:63] op_sel_hi:[1,0,1]
	v_pk_fma_f32 v[60:61], v[60:61], s[44:45], v[62:63] op_sel_hi:[1,0,1] neg_lo:[0,0,1] neg_hi:[0,0,1]
	v_mov_b32_e32 v62, v66
	v_mov_b32_e32 v63, v61
	v_pk_mul_f32 v[48:49], v[48:49], s[18:19] op_sel:[1,0] op_sel_hi:[0,0]
	v_pk_add_f32 v[58:59], v[62:63], v[58:59]
	v_pk_fma_f32 v[62:63], v[36:37], s[38:39], v[48:49] op_sel_hi:[1,0,1]
	v_pk_fma_f32 v[36:37], v[36:37], s[38:39], v[48:49] op_sel_hi:[1,0,1] neg_lo:[0,0,1] neg_hi:[0,0,1]
	v_mov_b32_e32 v3, v9
	v_mov_b32_e32 v48, v62
	;; [unrolled: 1-line block ×5, first 2 shown]
	v_pk_add_f32 v[2:3], v[188:189], v[2:3]
	v_pk_add_f32 v[48:49], v[48:49], v[58:59]
	v_pk_mul_f32 v[58:59], v[132:133], s[24:25] op_sel:[1,0] op_sel_hi:[0,0]
	v_mov_b32_e32 v55, v57
	v_pk_add_f32 v[46:47], v[188:189], v[46:47]
	v_pk_add_f32 v[2:3], v[12:13], v[2:3]
	v_mov_b32_e32 v17, v19
	v_pk_fma_f32 v[68:69], v[78:79], s[54:55], v[58:59] op_sel_hi:[1,0,1]
	v_pk_fma_f32 v[58:59], v[78:79], s[54:55], v[58:59] op_sel_hi:[1,0,1] neg_lo:[0,0,1] neg_hi:[0,0,1]
	v_pk_add_f32 v[46:47], v[54:55], v[46:47]
	v_mov_b32_e32 v51, v65
	v_pk_add_f32 v[2:3], v[16:17], v[2:3]
	v_mov_b32_e32 v21, v23
	v_mov_b32_e32 v70, v68
	;; [unrolled: 1-line block ×3, first 2 shown]
	v_pk_add_f32 v[46:47], v[50:51], v[46:47]
	v_mov_b32_e32 v61, v67
	v_pk_add_f32 v[2:3], v[20:21], v[2:3]
	v_mov_b32_e32 v27, v29
	v_pk_add_f32 v[48:49], v[70:71], v[48:49]
	v_pk_mul_f32 v[70:71], v[128:129], s[50:51] op_sel:[1,0] op_sel_hi:[0,0]
	v_pk_add_f32 v[46:47], v[60:61], v[46:47]
	v_mov_b32_e32 v37, v63
	v_pk_add_f32 v[2:3], v[26:27], v[2:3]
	v_mov_b32_e32 v31, v41
	v_pk_mul_f32 v[8:9], v[168:169], s[58:59] op_sel:[1,0] op_sel_hi:[0,0]
	v_pk_fma_f32 v[72:73], v[74:75], s[40:41], v[70:71] op_sel_hi:[1,0,1]
	v_pk_fma_f32 v[70:71], v[74:75], s[40:41], v[70:71] op_sel_hi:[1,0,1] neg_lo:[0,0,1] neg_hi:[0,0,1]
	v_pk_add_f32 v[36:37], v[36:37], v[46:47]
	v_mov_b32_e32 v59, v69
	v_pk_mul_f32 v[46:47], v[168:169], s[8:9] op_sel:[1,0] op_sel_hi:[0,0]
	v_pk_add_f32 v[2:3], v[30:31], v[2:3]
	v_mov_b32_e32 v43, v45
	v_pk_fma_f32 v[12:13], v[144:145], s[42:43], v[8:9] op_sel_hi:[1,0,1] neg_lo:[0,0,1] neg_hi:[0,0,1]
	v_pk_fma_f32 v[8:9], v[144:145], s[42:43], v[8:9] op_sel_hi:[1,0,1]
	v_mov_b32_e32 v75, v71
	v_pk_add_f32 v[36:37], v[58:59], v[36:37]
	v_mov_b32_e32 v71, v73
	v_pk_fma_f32 v[50:51], v[144:145], s[36:37], v[46:47] op_sel_hi:[1,0,1] neg_lo:[0,0,1] neg_hi:[0,0,1]
	v_pk_fma_f32 v[46:47], v[144:145], s[36:37], v[46:47] op_sel_hi:[1,0,1]
	v_pk_add_f32 v[2:3], v[42:43], v[2:3]
	v_mov_b32_e32 v14, v12
	v_mov_b32_e32 v15, v9
	v_pk_add_f32 v[36:37], v[70:71], v[36:37]
	v_mov_b32_e32 v52, v50
	v_mov_b32_e32 v53, v47
	v_pk_add_f32 v[18:19], v[14:15], v[2:3]
	v_pk_add_f32 v[16:17], v[52:53], v[36:37]
	v_accvgpr_write_b32 a151, v19
	v_accvgpr_write_b32 a150, v18
	;; [unrolled: 1-line block ×4, first 2 shown]
	global_load_dwordx4 v[14:17], v1, s[2:3] offset:64
	v_mov_b32_e32 v9, v13
	v_pk_add_f32 v[2:3], v[8:9], v[10:11]
	global_load_dwordx4 v[10:13], v1, s[2:3] offset:80
	v_mov_b32_e32 v74, v72
	v_pk_add_f32 v[48:49], v[74:75], v[48:49]
	v_mov_b32_e32 v47, v51
	v_pk_add_f32 v[4:5], v[46:47], v[48:49]
	global_load_dwordx4 v[48:51], v1, s[2:3] offset:96
	v_mov_b32_e32 v0, v149
	v_accvgpr_write_b32 a157, v5
	v_accvgpr_write_b32 a156, v4
	v_accvgpr_write_b32 a155, v3
	v_accvgpr_write_b32 a154, v2
	v_pk_mul_f32 v[2:3], v[250:251], v[0:1] op_sel_hi:[1,0]
	v_pk_fma_f32 v[40:41], v[250:251], v[148:149], v[2:3] op_sel:[0,0,1] op_sel_hi:[1,1,0] neg_lo:[0,0,1] neg_hi:[0,0,1]
	v_pk_fma_f32 v[2:3], v[250:251], v[148:149], v[2:3] op_sel:[0,0,1] op_sel_hi:[1,0,0]
	v_mov_b32_e32 v41, v3
	v_mov_b32_e32 v0, v193
	v_pk_add_f32 v[8:9], v[192:193], v[232:233]
	v_pk_add_f32 v[8:9], v[8:9], v[228:229]
	v_pk_add_f32 v[8:9], v[8:9], v[224:225]
	v_pk_add_f32 v[8:9], v[8:9], v[220:221]
	v_pk_add_f32 v[8:9], v[8:9], v[216:217]
	v_accvgpr_write_b32 a16, v76
	s_mov_b32 s39, s18
	v_accvgpr_write_b32 a17, v77
	s_mov_b32 s19, s38
	s_mov_b32 s41, s14
	v_accvgpr_write_b32 a143, v85
	v_accvgpr_write_b32 a142, v84
	;; [unrolled: 1-line block ×4, first 2 shown]
	s_mov_b32 s15, s40
	s_mov_b32 s53, s12
	;; [unrolled: 1-line block ×20, first 2 shown]
	v_accvgpr_write_b32 a111, v91
	v_accvgpr_write_b32 a110, v90
	;; [unrolled: 1-line block ×4, first 2 shown]
	s_waitcnt lgkmcnt(0)
	v_pk_mov_b32 v[108:109], v[198:199], v[198:199] op_sel:[0,1]
	s_mov_b32 s59, s42
	v_accvgpr_write_b32 a121, v119
	v_accvgpr_write_b32 a120, v118
	;; [unrolled: 1-line block ×7, first 2 shown]
	s_waitcnt vmcnt(2)
	v_pk_mul_f32 v[2:3], v[246:247], v[14:15] op_sel:[0,1]
	v_pk_fma_f32 v[42:43], v[246:247], v[14:15], v[2:3] op_sel:[0,0,1] op_sel_hi:[1,1,0] neg_lo:[0,0,1] neg_hi:[0,0,1]
	v_pk_fma_f32 v[2:3], v[246:247], v[14:15], v[2:3] op_sel:[0,0,1] op_sel_hi:[1,0,0]
	v_mov_b32_e32 v43, v3
	v_pk_add_f32 v[2:3], v[0:1], v[230:231]
	v_pk_add_f32 v[2:3], v[2:3], v[226:227]
	;; [unrolled: 1-line block ×5, first 2 shown]
	v_mov_b32_e32 v9, v2
	v_mov_b32_e32 v2, v130
	v_mov_b32_e32 v3, v24
	v_pk_add_f32 v[2:3], v[8:9], v[2:3]
	v_mov_b32_e32 v8, v6
	v_mov_b32_e32 v9, v86
	;; [unrolled: 1-line block ×3, first 2 shown]
	v_pk_add_f32 v[2:3], v[2:3], v[8:9]
	v_pk_mul_f32 v[8:9], v[242:243], v[0:1] op_sel_hi:[1,0]
	v_pk_fma_f32 v[4:5], v[242:243], v[16:17], v[8:9] op_sel:[0,0,1] op_sel_hi:[1,0,0] neg_lo:[0,0,1] neg_hi:[0,0,1]
	v_pk_fma_f32 v[44:45], v[242:243], v[16:17], v[8:9] op_sel:[0,0,1] op_sel_hi:[1,0,0]
	v_pk_add_f32 v[2:3], v[2:3], v[40:41]
	v_mov_b32_e32 v8, v4
	v_mov_b32_e32 v9, v45
	v_pk_add_f32 v[2:3], v[2:3], v[42:43]
	v_pk_add_f32 v[2:3], v[2:3], v[8:9]
	s_waitcnt vmcnt(1)
	v_pk_mul_f32 v[8:9], v[238:239], v[10:11] op_sel:[0,1]
	v_pk_fma_f32 v[28:29], v[238:239], v[10:11], v[8:9] op_sel:[0,0,1] op_sel_hi:[1,0,0] neg_lo:[0,0,1] neg_hi:[0,0,1]
	v_pk_fma_f32 v[46:47], v[238:239], v[10:11], v[8:9] op_sel:[0,0,1] op_sel_hi:[1,0,0]
	v_mov_b32_e32 v8, v28
	v_mov_b32_e32 v9, v47
	;; [unrolled: 1-line block ×3, first 2 shown]
	v_pk_add_f32 v[2:3], v[2:3], v[8:9]
	v_pk_mul_f32 v[8:9], v[234:235], v[0:1] op_sel_hi:[1,0]
	v_pk_fma_f32 v[20:21], v[234:235], v[12:13], v[8:9] op_sel:[0,0,1] op_sel_hi:[1,0,0] neg_lo:[0,0,1] neg_hi:[0,0,1]
	v_pk_fma_f32 v[26:27], v[234:235], v[12:13], v[8:9] op_sel:[0,0,1] op_sel_hi:[1,0,0]
	v_mov_b32_e32 v8, v20
	v_mov_b32_e32 v9, v27
	v_accvgpr_write_b32 a210, v16
	v_pk_add_f32 v[2:3], v[2:3], v[8:9]
	s_waitcnt vmcnt(0)
	v_pk_mul_f32 v[8:9], v[208:209], v[48:49] op_sel:[0,1]
	v_accvgpr_write_b32 a188, v17
	v_accvgpr_write_b32 a209, v15
	;; [unrolled: 1-line block ×3, first 2 shown]
	v_pk_fma_f32 v[16:17], v[208:209], v[48:49], v[8:9] op_sel:[0,0,1] op_sel_hi:[1,0,0] neg_lo:[0,0,1] neg_hi:[0,0,1]
	v_pk_fma_f32 v[22:23], v[208:209], v[48:49], v[8:9] op_sel:[0,0,1] op_sel_hi:[1,0,0]
	v_mov_b32_e32 v8, v16
	v_mov_b32_e32 v9, v23
	;; [unrolled: 1-line block ×3, first 2 shown]
	v_accvgpr_write_b32 a214, v12
	v_pk_add_f32 v[2:3], v[2:3], v[8:9]
	v_pk_mul_f32 v[8:9], v[204:205], v[0:1] op_sel_hi:[1,0]
	v_accvgpr_write_b32 a218, v50
	v_accvgpr_write_b32 a182, v13
	v_accvgpr_write_b32 a213, v11
	v_accvgpr_write_b32 a212, v10
	v_accvgpr_write_b32 a184, v51
	v_pk_fma_f32 v[12:13], v[204:205], v[50:51], v[8:9] op_sel:[0,0,1] op_sel_hi:[1,0,0] neg_lo:[0,0,1] neg_hi:[0,0,1]
	v_pk_fma_f32 v[18:19], v[204:205], v[50:51], v[8:9] op_sel:[0,0,1] op_sel_hi:[1,0,0]
	v_accvgpr_write_b32 a217, v49
	v_accvgpr_write_b32 a216, v48
	global_load_dwordx4 v[48:51], v1, s[2:3] offset:112
	v_mov_b32_e32 v8, v12
	v_mov_b32_e32 v9, v19
	v_pk_add_f32 v[2:3], v[2:3], v[8:9]
	v_pk_add_f32 v[58:59], v[224:225], v[12:13] neg_lo:[0,1] neg_hi:[0,1]
	v_pk_add_f32 v[78:79], v[220:221], v[16:17] neg_lo:[0,1] neg_hi:[0,1]
	;; [unrolled: 1-line block ×3, first 2 shown]
	v_pk_add_f32 v[252:253], v[40:41], v[42:43]
	v_pk_add_f32 v[40:41], v[40:41], v[42:43] neg_lo:[0,1] neg_hi:[0,1]
	v_pk_add_f32 v[82:83], v[130:131], v[28:29] neg_lo:[0,1] neg_hi:[0,1]
	global_load_dwordx4 a[236:239], v39, s[2:3] offset:112
	global_load_dwordx4 a[228:231], v39, s[2:3] offset:96
	;; [unrolled: 1-line block ×4, first 2 shown]
	s_waitcnt lgkmcnt(0)
	; wave barrier
	buffer_store_dword v97, off, s[76:79], 0 ; 4-byte Folded Spill
	s_waitcnt vmcnt(5)
	v_pk_mul_f32 v[0:1], v[200:201], v[48:49] op_sel:[0,1]
	v_pk_fma_f32 v[10:11], v[200:201], v[48:49], v[0:1] op_sel:[0,0,1] op_sel_hi:[1,0,0] neg_lo:[0,0,1] neg_hi:[0,0,1]
	v_pk_fma_f32 v[14:15], v[200:201], v[48:49], v[0:1] op_sel:[0,0,1] op_sel_hi:[1,0,0]
	v_mov_b32_e32 v0, v10
	v_mov_b32_e32 v1, v15
	v_pk_add_f32 v[0:1], v[2:3], v[0:1]
	v_mov_b32_e32 v2, v51
	v_pk_mul_f32 v[2:3], v[196:197], v[2:3] op_sel_hi:[1,0]
	v_pk_fma_f32 v[8:9], v[196:197], v[50:51], v[2:3] op_sel:[0,0,1] op_sel_hi:[1,0,0] neg_lo:[0,0,1] neg_hi:[0,0,1]
	v_pk_fma_f32 v[2:3], v[196:197], v[50:51], v[2:3] op_sel:[0,0,1] op_sel_hi:[1,0,0]
	v_mov_b32_e32 v36, v8
	v_mov_b32_e32 v37, v3
	v_pk_add_f32 v[52:53], v[0:1], v[36:37]
	v_mov_b32_e32 v1, v230
	v_accvgpr_write_b32 a222, v50
	v_pk_add_f32 v[36:37], v[0:1], v[2:3]
	v_mov_b32_e32 v1, v226
	v_accvgpr_write_b32 a221, v49
	v_accvgpr_write_b32 a220, v48
	v_pk_add_f32 v[48:49], v[0:1], v[14:15]
	v_mov_b32_e32 v1, v222
	v_accvgpr_write_b32 a186, v51
	v_pk_add_f32 v[50:51], v[0:1], v[18:19]
	v_mov_b32_e32 v1, v218
	v_pk_add_f32 v[60:61], v[0:1], v[22:23]
	v_mov_b32_e32 v1, v214
	v_pk_add_f32 v[66:67], v[232:233], v[8:9]
	v_pk_add_f32 v[54:55], v[232:233], v[8:9] neg_lo:[0,1] neg_hi:[0,1]
	v_pk_add_f32 v[62:63], v[0:1], v[26:27]
	v_mov_b32_e32 v1, v24
	v_mov_b32_e32 v2, v3
	v_pk_add_f32 v[30:31], v[228:229], v[10:11]
	v_pk_add_f32 v[56:57], v[228:229], v[10:11] neg_lo:[0,1] neg_hi:[0,1]
	v_mov_b32_e32 v10, v15
	v_pk_add_f32 v[64:65], v[0:1], v[46:47]
	v_mov_b32_e32 v1, v86
	v_mov_b32_e32 v67, v54
	v_pk_add_f32 v[76:77], v[230:231], v[2:3] neg_lo:[0,1] neg_hi:[0,1]
	v_pk_add_f32 v[74:75], v[226:227], v[10:11] neg_lo:[0,1] neg_hi:[0,1]
	v_pk_add_f32 v[10:11], v[224:225], v[12:13]
	v_mov_b32_e32 v12, v19
	v_pk_add_f32 v[18:19], v[0:1], v[44:45]
	v_pk_mul_f32 v[0:1], v[66:67], s[38:39]
	v_pk_add_f32 v[72:73], v[222:223], v[12:13] neg_lo:[0,1] neg_hi:[0,1]
	v_pk_add_f32 v[12:13], v[220:221], v[16:17]
	v_mov_b32_e32 v16, v23
	v_mov_b32_e32 v31, v56
	;; [unrolled: 1-line block ×3, first 2 shown]
	v_accvgpr_write_b32 a31, v1
	v_pk_add_f32 v[70:71], v[218:219], v[16:17] neg_lo:[0,1] neg_hi:[0,1]
	v_pk_add_f32 v[16:17], v[216:217], v[20:21]
	v_mov_b32_e32 v20, v27
	v_pk_fma_f32 v[42:43], v[76:77], s[18:19], v[0:1] neg_lo:[1,0,0] neg_hi:[1,0,0]
	v_pk_fma_f32 v[146:147], v[36:37], s[18:19], v[0:1]
	v_accvgpr_write_b32 a30, v0
	v_pk_mul_f32 v[0:1], v[30:31], s[40:41]
	v_pk_add_f32 v[68:69], v[214:215], v[20:21] neg_lo:[0,1] neg_hi:[0,1]
	v_pk_add_f32 v[20:21], v[130:131], v[28:29]
	v_mov_b32_e32 v28, v47
	v_mov_b32_e32 v48, v74
	v_accvgpr_write_b32 a39, v1
	v_mov_b32_e32 v11, v58
	v_pk_add_f32 v[28:29], v[24:25], v[28:29] neg_lo:[0,1] neg_hi:[0,1]
	v_pk_add_f32 v[24:25], v[6:7], v[4:5]
	v_pk_add_f32 v[46:47], v[6:7], v[4:5] neg_lo:[0,1] neg_hi:[0,1]
	v_mov_b32_e32 v6, v45
	v_mov_b32_e32 v43, v147
	v_pk_fma_f32 v[44:45], v[74:75], s[14:15], v[0:1] neg_lo:[1,0,0] neg_hi:[1,0,0]
	v_pk_fma_f32 v[142:143], v[48:49], s[14:15], v[0:1]
	v_accvgpr_write_b32 a38, v0
	v_pk_mul_f32 v[0:1], v[10:11], s[52:53]
	v_pk_add_f32 v[42:43], v[192:193], v[42:43]
	v_mov_b32_e32 v45, v143
	v_mov_b32_e32 v50, v72
	v_accvgpr_write_b32 a81, v1
	v_mov_b32_e32 v13, v78
	v_pk_add_f32 v[42:43], v[44:45], v[42:43]
	v_pk_fma_f32 v[44:45], v[72:73], s[12:13], v[0:1] neg_lo:[1,0,0] neg_hi:[1,0,0]
	v_pk_fma_f32 v[126:127], v[50:51], s[12:13], v[0:1]
	v_accvgpr_write_b32 a80, v0
	v_pk_mul_f32 v[0:1], v[12:13], s[42:43]
	v_mov_b32_e32 v45, v127
	v_mov_b32_e32 v60, v70
	v_accvgpr_write_b32 a241, v1
	v_mov_b32_e32 v17, v80
	v_pk_add_f32 v[42:43], v[44:45], v[42:43]
	v_pk_fma_f32 v[44:45], v[70:71], s[16:17], v[0:1] neg_lo:[1,0,0] neg_hi:[1,0,0]
	v_pk_fma_f32 v[122:123], v[60:61], s[16:17], v[0:1]
	v_accvgpr_write_b32 a240, v0
	v_pk_mul_f32 v[0:1], v[16:17], s[36:37]
	;; [unrolled: 9-line block ×3, first 2 shown]
	v_mov_b32_e32 v45, v113
	v_mov_b32_e32 v64, v28
	v_accvgpr_write_b32 a245, v1
	v_mov_b32_e32 v25, v46
	v_pk_add_f32 v[26:27], v[86:87], v[6:7] neg_lo:[0,1] neg_hi:[0,1]
	v_pk_add_f32 v[42:43], v[44:45], v[42:43]
	v_pk_fma_f32 v[44:45], v[28:29], s[20:21], v[0:1] neg_lo:[1,0,0] neg_hi:[1,0,0]
	v_pk_fma_f32 v[138:139], v[64:65], s[20:21], v[0:1]
	v_accvgpr_write_b32 a244, v0
	v_pk_mul_f32 v[0:1], v[24:25], s[46:47]
	v_mov_b32_e32 v45, v139
	v_mov_b32_e32 v18, v26
	v_accvgpr_write_b32 a247, v1
	v_mov_b32_e32 v217, v253
	v_mov_b32_e32 v253, v40
	v_pk_add_f32 v[42:43], v[44:45], v[42:43]
	v_pk_fma_f32 v[44:45], v[26:27], s[22:23], v[0:1] neg_lo:[1,0,0] neg_hi:[1,0,0]
	v_pk_fma_f32 v[214:215], v[18:19], s[22:23], v[0:1]
	v_accvgpr_write_b32 a246, v0
	v_pk_mul_f32 v[0:1], v[252:253], s[54:55]
	v_mov_b32_e32 v216, v41
	v_accvgpr_write_b32 a249, v1
	v_pk_fma_f32 v[40:41], v[216:217], s[24:25], v[0:1] neg_lo:[1,0,0] neg_hi:[1,0,0]
	v_pk_fma_f32 v[220:221], v[216:217], s[24:25], v[0:1]
	v_accvgpr_write_b32 a248, v0
	v_mul_u32_u24_e32 v0, 0x77, v33
	v_add_u32_sdwa v0, v0, v35 dst_sel:DWORD dst_unused:UNUSED_PAD src0_sel:DWORD src1_sel:BYTE_0
	v_lshl_add_u32 v150, v0, 3, v97
	v_pk_mul_f32 v[0:1], v[66:67], s[40:41]
	v_accvgpr_write_b32 a129, v1
	v_pk_fma_f32 v[32:33], v[76:77], s[14:15], v[0:1] neg_lo:[1,0,0] neg_hi:[1,0,0]
	v_pk_fma_f32 v[222:223], v[36:37], s[14:15], v[0:1]
	v_accvgpr_write_b32 a128, v0
	v_pk_mul_f32 v[0:1], v[30:31], s[42:43]
	v_accvgpr_write_b32 a225, v1
	v_mov_b32_e32 v33, v223
	v_pk_fma_f32 v[34:35], v[74:75], s[16:17], v[0:1] neg_lo:[1,0,0] neg_hi:[1,0,0]
	v_pk_fma_f32 v[226:227], v[48:49], s[16:17], v[0:1]
	v_accvgpr_write_b32 a224, v0
	v_pk_mul_f32 v[0:1], v[10:11], s[44:45]
	v_pk_add_f32 v[32:33], v[192:193], v[32:33]
	v_mov_b32_e32 v35, v227
	v_accvgpr_write_b32 a227, v1
	v_pk_add_f32 v[32:33], v[34:35], v[32:33]
	v_pk_fma_f32 v[34:35], v[72:73], s[20:21], v[0:1] neg_lo:[1,0,0] neg_hi:[1,0,0]
	v_pk_fma_f32 v[230:231], v[50:51], s[20:21], v[0:1]
	v_accvgpr_write_b32 a226, v0
	v_pk_mul_f32 v[0:1], v[12:13], s[54:55]
	v_mov_b32_e32 v35, v231
	v_accvgpr_write_b32 a255, v1
	v_pk_add_f32 v[32:33], v[34:35], v[32:33]
	v_pk_fma_f32 v[34:35], v[70:71], s[24:25], v[0:1] neg_lo:[1,0,0] neg_hi:[1,0,0]
	v_pk_fma_f32 v[234:235], v[60:61], s[24:25], v[0:1]
	v_accvgpr_write_b32 a254, v0
	v_pk_mul_f32 v[0:1], v[16:17], s[70:71]
	;; [unrolled: 7-line block ×7, first 2 shown]
	v_mov_b32_e32 v35, v185
	v_pk_fma_f32 v[38:39], v[74:75], s[20:21], v[0:1] neg_lo:[1,0,0] neg_hi:[1,0,0]
	v_pk_fma_f32 v[208:209], v[48:49], s[20:21], v[0:1]
	v_pk_add_f32 v[34:35], v[192:193], v[34:35]
	v_mov_b32_e32 v39, v209
	v_pk_mul_f32 v[236:237], v[10:11], s[74:75]
	v_pk_add_f32 v[34:35], v[38:39], v[34:35]
	v_pk_fma_f32 v[38:39], v[72:73], s[48:49], v[236:237] neg_lo:[1,0,0] neg_hi:[1,0,0]
	v_pk_fma_f32 v[212:213], v[50:51], s[48:49], v[236:237]
	v_mov_b32_e32 v39, v213
	v_pk_mul_f32 v[232:233], v[12:13], s[66:67]
	v_mov_b32_e32 v45, v215
	v_pk_add_f32 v[34:35], v[38:39], v[34:35]
	v_pk_fma_f32 v[38:39], v[70:71], s[28:29], v[232:233] neg_lo:[1,0,0] neg_hi:[1,0,0]
	v_pk_fma_f32 v[98:99], v[60:61], s[28:29], v[232:233]
	v_pk_add_f32 v[42:43], v[44:45], v[42:43]
	v_mov_b32_e32 v41, v221
	v_mov_b32_e32 v39, v99
	v_pk_mul_f32 v[254:255], v[16:17], s[64:65]
	v_pk_add_f32 v[40:41], v[40:41], v[42:43]
	v_pk_add_f32 v[34:35], v[38:39], v[34:35]
	v_pk_fma_f32 v[38:39], v[68:69], s[50:51], v[254:255] neg_lo:[1,0,0] neg_hi:[1,0,0]
	v_pk_fma_f32 v[154:155], v[62:63], s[50:51], v[254:255]
	v_pk_mul_f32 v[228:229], v[20:21], s[38:39]
	ds_write2_b64 v150, v[52:53], v[40:41] offset1:7
	v_mov_b32_e32 v39, v155
	v_pk_fma_f32 v[40:41], v[28:29], s[18:19], v[228:229] neg_lo:[1,0,0] neg_hi:[1,0,0]
	v_pk_fma_f32 v[158:159], v[64:65], s[18:19], v[228:229]
	v_pk_add_f32 v[34:35], v[38:39], v[34:35]
	v_mov_b32_e32 v41, v159
	v_pk_mul_f32 v[224:225], v[24:25], s[42:43]
	v_pk_add_f32 v[34:35], v[40:41], v[34:35]
	v_pk_fma_f32 v[40:41], v[26:27], s[16:17], v[224:225] neg_lo:[1,0,0] neg_hi:[1,0,0]
	v_pk_fma_f32 v[160:161], v[18:19], s[16:17], v[224:225]
	v_mov_b32_e32 v41, v161
	v_pk_mul_f32 v[218:219], v[252:253], s[46:47]
	v_pk_add_f32 v[34:35], v[40:41], v[34:35]
	v_pk_fma_f32 v[40:41], v[216:217], s[22:23], v[218:219] neg_lo:[1,0,0] neg_hi:[1,0,0]
	v_pk_fma_f32 v[164:165], v[216:217], s[22:23], v[218:219]
	v_mov_b32_e32 v41, v165
	v_pk_add_f32 v[34:35], v[40:41], v[34:35]
	v_pk_mul_f32 v[210:211], v[66:67], s[42:43]
	ds_write2_b64 v150, v[32:33], v[34:35] offset0:14 offset1:21
	v_pk_fma_f32 v[32:33], v[76:77], s[16:17], v[210:211] neg_lo:[1,0,0] neg_hi:[1,0,0]
	v_pk_fma_f32 v[186:187], v[36:37], s[16:17], v[210:211]
	v_pk_mul_f32 v[204:205], v[30:31], s[54:55]
	v_mov_b32_e32 v33, v187
	v_pk_fma_f32 v[40:41], v[74:75], s[24:25], v[204:205] neg_lo:[1,0,0] neg_hi:[1,0,0]
	v_pk_fma_f32 v[190:191], v[48:49], s[24:25], v[204:205]
	v_pk_add_f32 v[34:35], v[192:193], v[32:33]
	v_mov_b32_e32 v41, v191
	v_pk_mul_f32 v[188:189], v[10:11], s[66:67]
	v_pk_add_f32 v[42:43], v[40:41], v[34:35]
	v_pk_fma_f32 v[44:45], v[72:73], s[28:29], v[188:189] neg_lo:[1,0,0] neg_hi:[1,0,0]
	v_pk_fma_f32 v[34:35], v[50:51], s[28:29], v[188:189]
	v_mov_b32_e32 v45, v35
	v_pk_mul_f32 v[166:167], v[12:13], s[62:63]
	v_pk_add_f32 v[46:47], v[44:45], v[42:43]
	v_pk_fma_f32 v[52:53], v[70:71], s[34:35], v[166:167] neg_lo:[1,0,0] neg_hi:[1,0,0]
	v_pk_fma_f32 v[42:43], v[60:61], s[34:35], v[166:167]
	;; [unrolled: 5-line block ×5, first 2 shown]
	v_mov_b32_e32 v85, v59
	v_pk_add_f32 v[86:87], v[84:85], v[82:83]
	v_pk_mul_f32 v[84:85], v[252:253], s[64:65]
	v_pk_fma_f32 v[88:89], v[216:217], s[50:51], v[84:85] neg_lo:[1,0,0] neg_hi:[1,0,0]
	v_pk_fma_f32 v[82:83], v[216:217], s[50:51], v[84:85]
	v_mov_b32_e32 v89, v83
	v_pk_add_f32 v[116:117], v[88:89], v[86:87]
	v_pk_mul_f32 v[88:89], v[66:67], s[36:37]
	v_pk_fma_f32 v[90:91], v[76:77], s[8:9], v[88:89] neg_lo:[1,0,0] neg_hi:[1,0,0]
	v_pk_fma_f32 v[86:87], v[36:37], s[8:9], v[88:89]
	v_mov_b32_e32 v91, v87
	v_pk_mul_f32 v[52:53], v[30:31], s[70:71]
	v_pk_add_f32 v[94:95], v[192:193], v[90:91]
	v_pk_fma_f32 v[106:107], v[74:75], s[26:27], v[52:53] neg_lo:[1,0,0] neg_hi:[1,0,0]
	v_pk_fma_f32 v[90:91], v[48:49], s[26:27], v[52:53]
	v_mov_b32_e32 v107, v91
	v_pk_add_f32 v[110:111], v[106:107], v[94:95]
	v_pk_mul_f32 v[106:107], v[10:11], s[64:65]
	v_pk_fma_f32 v[114:115], v[72:73], s[50:51], v[106:107] neg_lo:[1,0,0] neg_hi:[1,0,0]
	v_pk_fma_f32 v[94:95], v[50:51], s[50:51], v[106:107]
	v_mov_b32_e32 v115, v95
	v_pk_mul_f32 v[44:45], v[12:13], s[52:53]
	v_pk_add_f32 v[110:111], v[114:115], v[110:111]
	v_pk_fma_f32 v[114:115], v[70:71], s[12:13], v[44:45] neg_lo:[1,0,0] neg_hi:[1,0,0]
	v_pk_mov_b32 v[38:39], v[202:203], v[202:203] op_sel:[0,1]
	v_pk_fma_f32 v[202:203], v[60:61], s[12:13], v[44:45]
	v_mov_b32_e32 v115, v203
	v_pk_mul_f32 v[200:201], v[16:17], s[54:55]
	v_pk_add_f32 v[110:111], v[114:115], v[110:111]
	v_pk_fma_f32 v[114:115], v[68:69], s[24:25], v[200:201] neg_lo:[1,0,0] neg_hi:[1,0,0]
	v_pk_fma_f32 v[198:199], v[62:63], s[24:25], v[200:201]
	v_mov_b32_e32 v115, v199
	v_pk_mul_f32 v[196:197], v[20:21], s[68:69]
	v_pk_add_f32 v[110:111], v[114:115], v[110:111]
	v_pk_fma_f32 v[114:115], v[28:29], s[58:59], v[196:197] neg_lo:[1,0,0] neg_hi:[1,0,0]
	v_pk_fma_f32 v[14:15], v[64:65], s[58:59], v[196:197]
	v_mov_b32_e32 v115, v15
	v_pk_add_f32 v[120:121], v[114:115], v[110:111]
	v_pk_mul_f32 v[114:115], v[24:25], s[38:39]
	v_pk_fma_f32 v[124:125], v[26:27], s[18:19], v[114:115] neg_lo:[1,0,0] neg_hi:[1,0,0]
	v_pk_fma_f32 v[110:111], v[18:19], s[18:19], v[114:115]
	v_mov_b32_e32 v125, v111
	v_pk_add_f32 v[128:129], v[124:125], v[120:121]
	v_pk_mul_f32 v[124:125], v[252:253], s[44:45]
	v_pk_fma_f32 v[130:131], v[216:217], s[20:21], v[124:125] neg_lo:[1,0,0] neg_hi:[1,0,0]
	v_pk_fma_f32 v[120:121], v[216:217], s[20:21], v[124:125]
	v_mov_b32_e32 v131, v121
	v_pk_add_f32 v[128:129], v[130:131], v[128:129]
	ds_write2_b64 v150, v[116:117], v[128:129] offset0:28 offset1:35
	v_pk_mul_f32 v[116:117], v[66:67], s[44:45]
	v_pk_fma_f32 v[128:129], v[76:77], s[20:21], v[116:117] neg_lo:[1,0,0] neg_hi:[1,0,0]
	v_pk_fma_f32 v[130:131], v[36:37], s[20:21], v[116:117]
	v_pk_mul_f32 v[132:133], v[30:31], s[66:67]
	v_mov_b32_e32 v129, v131
	v_pk_fma_f32 v[134:135], v[74:75], s[28:29], v[132:133] neg_lo:[1,0,0] neg_hi:[1,0,0]
	v_pk_fma_f32 v[148:149], v[48:49], s[28:29], v[132:133]
	v_pk_add_f32 v[128:129], v[192:193], v[128:129]
	v_mov_b32_e32 v135, v149
	v_pk_add_f32 v[128:129], v[134:135], v[128:129]
	v_pk_mul_f32 v[134:135], v[10:11], s[38:39]
	v_pk_fma_f32 v[144:145], v[72:73], s[18:19], v[134:135] neg_lo:[1,0,0] neg_hi:[1,0,0]
	v_pk_fma_f32 v[136:137], v[50:51], s[18:19], v[134:135]
	v_mov_b32_e32 v145, v137
	v_pk_add_f32 v[128:129], v[144:145], v[128:129]
	v_pk_mul_f32 v[144:145], v[12:13], s[46:47]
	v_pk_fma_f32 v[140:141], v[70:71], s[22:23], v[144:145] neg_lo:[1,0,0] neg_hi:[1,0,0]
	v_pk_fma_f32 v[118:119], v[60:61], s[22:23], v[144:145]
	;; [unrolled: 5-line block ×7, first 2 shown]
	v_pk_mul_f32 v[32:33], v[30:31], s[60:61]
	v_mov_b32_e32 v183, v97
	v_pk_fma_f32 v[100:101], v[74:75], s[30:31], v[32:33] neg_lo:[1,0,0] neg_hi:[1,0,0]
	v_pk_fma_f32 v[102:103], v[48:49], s[30:31], v[32:33]
	v_pk_add_f32 v[182:183], v[192:193], v[182:183]
	v_mov_b32_e32 v101, v103
	v_pk_add_f32 v[100:101], v[100:101], v[182:183]
	v_pk_mul_f32 v[182:183], v[10:11], s[42:43]
	v_pk_fma_f32 v[240:241], v[72:73], s[16:17], v[182:183] neg_lo:[1,0,0] neg_hi:[1,0,0]
	v_pk_fma_f32 v[242:243], v[50:51], s[16:17], v[182:183]
	v_mov_b32_e32 v241, v243
	v_pk_add_f32 v[100:101], v[240:241], v[100:101]
	v_pk_mul_f32 v[240:241], v[12:13], s[72:73]
	v_pk_mov_b32 v[80:81], v[244:245], v[244:245] op_sel:[0,1]
	v_pk_fma_f32 v[244:245], v[70:71], s[56:57], v[240:241] neg_lo:[1,0,0] neg_hi:[1,0,0]
	v_pk_fma_f32 v[246:247], v[60:61], s[56:57], v[240:241]
	v_mov_b32_e32 v245, v247
	v_pk_add_f32 v[100:101], v[244:245], v[100:101]
	v_pk_mul_f32 v[244:245], v[16:17], s[38:39]
	v_pk_mov_b32 v[40:41], v[248:249], v[248:249] op_sel:[0,1]
	v_pk_fma_f32 v[248:249], v[68:69], s[18:19], v[244:245] neg_lo:[1,0,0] neg_hi:[1,0,0]
	v_pk_fma_f32 v[250:251], v[62:63], s[18:19], v[244:245]
	v_mov_b32_e32 v249, v251
	v_accvgpr_write_b32 a37, v1
	v_pk_add_f32 v[100:101], v[248:249], v[100:101]
	v_pk_mul_f32 v[248:249], v[20:21], s[54:55]
	v_accvgpr_write_b32 a36, v0
	v_pk_fma_f32 v[0:1], v[28:29], s[24:25], v[248:249] neg_lo:[1,0,0] neg_hi:[1,0,0]
	v_pk_fma_f32 v[6:7], v[64:65], s[24:25], v[248:249]
	v_mov_b32_e32 v1, v7
	v_pk_add_f32 v[2:3], v[0:1], v[100:101]
	v_pk_mul_f32 v[100:101], v[24:25], s[64:65]
	v_pk_fma_f32 v[0:1], v[26:27], s[50:51], v[100:101] neg_lo:[1,0,0] neg_hi:[1,0,0]
	v_pk_fma_f32 v[4:5], v[18:19], s[50:51], v[100:101]
	v_mov_b32_e32 v1, v5
	v_pk_mul_f32 v[22:23], v[252:253], s[36:37]
	v_pk_add_f32 v[8:9], v[0:1], v[2:3]
	v_pk_fma_f32 v[0:1], v[216:217], s[8:9], v[22:23] neg_lo:[1,0,0] neg_hi:[1,0,0]
	v_pk_fma_f32 v[2:3], v[216:217], s[8:9], v[22:23]
	v_mov_b32_e32 v1, v3
	v_pk_add_f32 v[0:1], v[0:1], v[8:9]
	ds_write2_b64 v150, v[128:129], v[0:1] offset0:42 offset1:49
	v_pk_mul_f32 v[0:1], v[66:67], s[54:55]
	v_pk_fma_f32 v[8:9], v[76:77], s[24:25], v[0:1] neg_lo:[1,0,0] neg_hi:[1,0,0]
	v_pk_fma_f32 v[66:67], v[36:37], s[24:25], v[0:1]
	v_pk_mul_f32 v[30:31], v[30:31], s[62:63]
	v_mov_b32_e32 v9, v67
	v_pk_fma_f32 v[74:75], v[74:75], s[34:35], v[30:31] neg_lo:[1,0,0] neg_hi:[1,0,0]
	v_pk_fma_f32 v[76:77], v[48:49], s[34:35], v[30:31]
	v_pk_add_f32 v[8:9], v[192:193], v[8:9]
	v_mov_b32_e32 v75, v77
	v_pk_mul_f32 v[10:11], v[10:11], s[46:47]
	v_pk_add_f32 v[8:9], v[74:75], v[8:9]
	v_pk_fma_f32 v[72:73], v[72:73], s[22:23], v[10:11] neg_lo:[1,0,0] neg_hi:[1,0,0]
	v_pk_fma_f32 v[74:75], v[50:51], s[22:23], v[10:11]
	v_mov_b32_e32 v73, v75
	v_pk_mul_f32 v[12:13], v[12:13], s[64:65]
	v_pk_add_f32 v[8:9], v[72:73], v[8:9]
	v_pk_fma_f32 v[70:71], v[70:71], s[50:51], v[12:13] neg_lo:[1,0,0] neg_hi:[1,0,0]
	v_pk_fma_f32 v[72:73], v[60:61], s[50:51], v[12:13]
	;; [unrolled: 5-line block ×3, first 2 shown]
	v_pk_fma_f32 v[0:1], v[36:37], s[24:25], v[0:1] neg_lo:[0,0,1] neg_hi:[0,0,1]
	v_mov_b32_e32 v69, v71
	v_pk_mul_f32 v[20:21], v[20:21], s[60:61]
	v_mov_b32_e32 v67, v1
	v_pk_fma_f32 v[0:1], v[48:49], s[34:35], v[30:31] neg_lo:[0,0,1] neg_hi:[0,0,1]
	v_pk_add_f32 v[8:9], v[68:69], v[8:9]
	v_pk_fma_f32 v[28:29], v[28:29], s[30:31], v[20:21] neg_lo:[1,0,0] neg_hi:[1,0,0]
	v_pk_fma_f32 v[68:69], v[64:65], s[30:31], v[20:21]
	v_mov_b32_e32 v77, v1
	v_pk_add_f32 v[0:1], v[192:193], v[66:67]
	v_pk_fma_f32 v[10:11], v[50:51], s[22:23], v[10:11] neg_lo:[0,0,1] neg_hi:[0,0,1]
	v_mov_b32_e32 v29, v69
	v_pk_mul_f32 v[24:25], v[24:25], s[36:37]
	v_pk_add_f32 v[0:1], v[76:77], v[0:1]
	v_mov_b32_e32 v75, v11
	v_pk_fma_f32 v[10:11], v[60:61], s[50:51], v[12:13] neg_lo:[0,0,1] neg_hi:[0,0,1]
	v_pk_add_f32 v[8:9], v[28:29], v[8:9]
	v_pk_fma_f32 v[26:27], v[26:27], s[8:9], v[24:25] neg_lo:[1,0,0] neg_hi:[1,0,0]
	v_pk_fma_f32 v[28:29], v[18:19], s[8:9], v[24:25]
	v_pk_add_f32 v[0:1], v[74:75], v[0:1]
	v_mov_b32_e32 v73, v11
	v_pk_fma_f32 v[10:11], v[62:63], s[20:21], v[16:17] neg_lo:[0,0,1] neg_hi:[0,0,1]
	v_mov_b32_e32 v27, v29
	v_pk_add_f32 v[0:1], v[72:73], v[0:1]
	v_mov_b32_e32 v71, v11
	v_pk_fma_f32 v[10:11], v[64:65], s[30:31], v[20:21] neg_lo:[0,0,1] neg_hi:[0,0,1]
	v_pk_add_f32 v[8:9], v[26:27], v[8:9]
	v_pk_mul_f32 v[26:27], v[252:253], s[68:69]
	v_pk_add_f32 v[0:1], v[70:71], v[0:1]
	v_mov_b32_e32 v69, v11
	v_pk_fma_f32 v[10:11], v[18:19], s[8:9], v[24:25] neg_lo:[0,0,1] neg_hi:[0,0,1]
	v_pk_fma_f32 v[128:129], v[216:217], s[58:59], v[26:27] neg_lo:[1,0,0] neg_hi:[1,0,0]
	v_pk_fma_f32 v[252:253], v[216:217], s[58:59], v[26:27]
	v_pk_add_f32 v[0:1], v[68:69], v[0:1]
	v_mov_b32_e32 v29, v11
	v_pk_fma_f32 v[10:11], v[216:217], s[58:59], v[26:27] neg_lo:[0,0,1] neg_hi:[0,0,1]
	v_mov_b32_e32 v129, v253
	v_pk_add_f32 v[0:1], v[28:29], v[0:1]
	v_mov_b32_e32 v253, v11
	v_pk_add_f32 v[8:9], v[128:129], v[8:9]
	v_pk_add_f32 v[0:1], v[252:253], v[0:1]
	ds_write2_b64 v150, v[8:9], v[0:1] offset0:56 offset1:63
	v_pk_fma_f32 v[0:1], v[36:37], s[22:23], v[178:179] neg_lo:[0,0,1] neg_hi:[0,0,1]
	v_mov_b32_e32 v97, v1
	v_pk_fma_f32 v[0:1], v[48:49], s[30:31], v[32:33] neg_lo:[0,0,1] neg_hi:[0,0,1]
	v_mov_b32_e32 v103, v1
	v_pk_add_f32 v[0:1], v[192:193], v[96:97]
	v_pk_fma_f32 v[8:9], v[50:51], s[16:17], v[182:183] neg_lo:[0,0,1] neg_hi:[0,0,1]
	v_pk_add_f32 v[0:1], v[102:103], v[0:1]
	v_mov_b32_e32 v243, v9
	v_pk_fma_f32 v[8:9], v[60:61], s[56:57], v[240:241] neg_lo:[0,0,1] neg_hi:[0,0,1]
	v_pk_add_f32 v[0:1], v[242:243], v[0:1]
	v_mov_b32_e32 v247, v9
	;; [unrolled: 3-line block ×4, first 2 shown]
	v_pk_add_f32 v[0:1], v[6:7], v[0:1]
	v_pk_fma_f32 v[6:7], v[18:19], s[50:51], v[100:101] neg_lo:[0,0,1] neg_hi:[0,0,1]
	v_mov_b32_e32 v5, v7
	v_pk_add_f32 v[0:1], v[4:5], v[0:1]
	v_pk_fma_f32 v[4:5], v[216:217], s[8:9], v[22:23] neg_lo:[0,0,1] neg_hi:[0,0,1]
	v_mov_b32_e32 v3, v5
	;; [unrolled: 3-line block ×3, first 2 shown]
	v_pk_fma_f32 v[2:3], v[48:49], s[28:29], v[132:133] neg_lo:[0,0,1] neg_hi:[0,0,1]
	v_mov_b32_e32 v149, v3
	v_pk_add_f32 v[2:3], v[192:193], v[130:131]
	v_pk_fma_f32 v[4:5], v[50:51], s[18:19], v[134:135] neg_lo:[0,0,1] neg_hi:[0,0,1]
	v_pk_add_f32 v[2:3], v[148:149], v[2:3]
	v_mov_b32_e32 v137, v5
	v_pk_fma_f32 v[4:5], v[60:61], s[22:23], v[144:145] neg_lo:[0,0,1] neg_hi:[0,0,1]
	v_pk_add_f32 v[2:3], v[136:137], v[2:3]
	v_mov_b32_e32 v119, v5
	;; [unrolled: 3-line block ×6, first 2 shown]
	v_pk_add_f32 v[2:3], v[180:181], v[2:3]
	ds_write2_b64 v150, v[0:1], v[2:3] offset0:70 offset1:77
	v_pk_fma_f32 v[2:3], v[50:51], s[50:51], v[106:107] neg_lo:[0,0,1] neg_hi:[0,0,1]
	v_mov_b32_e32 v95, v3
	v_pk_fma_f32 v[2:3], v[60:61], s[12:13], v[44:45] neg_lo:[0,0,1] neg_hi:[0,0,1]
	v_mov_b32_e32 v203, v3
	v_pk_fma_f32 v[2:3], v[62:63], s[24:25], v[200:201] neg_lo:[0,0,1] neg_hi:[0,0,1]
	v_mov_b32_e32 v199, v3
	v_pk_fma_f32 v[2:3], v[64:65], s[58:59], v[196:197] neg_lo:[0,0,1] neg_hi:[0,0,1]
	v_mov_b32_e32 v15, v3
	v_pk_fma_f32 v[2:3], v[18:19], s[18:19], v[114:115] neg_lo:[0,0,1] neg_hi:[0,0,1]
	v_mov_b32_e32 v111, v3
	v_pk_fma_f32 v[2:3], v[216:217], s[20:21], v[124:125] neg_lo:[0,0,1] neg_hi:[0,0,1]
	v_pk_fma_f32 v[0:1], v[36:37], s[8:9], v[88:89] neg_lo:[0,0,1] neg_hi:[0,0,1]
	v_mov_b32_e32 v121, v3
	v_pk_fma_f32 v[2:3], v[36:37], s[16:17], v[210:211] neg_lo:[0,0,1] neg_hi:[0,0,1]
	v_mov_b32_e32 v87, v1
	;; [unrolled: 2-line block ×4, first 2 shown]
	v_pk_add_f32 v[0:1], v[192:193], v[86:87]
	v_mov_b32_e32 v191, v3
	v_pk_add_f32 v[2:3], v[192:193], v[186:187]
	v_pk_fma_f32 v[4:5], v[50:51], s[28:29], v[188:189] neg_lo:[0,0,1] neg_hi:[0,0,1]
	v_pk_add_f32 v[0:1], v[90:91], v[0:1]
	v_pk_add_f32 v[2:3], v[190:191], v[2:3]
	v_mov_b32_e32 v35, v5
	v_pk_fma_f32 v[4:5], v[60:61], s[34:35], v[166:167] neg_lo:[0,0,1] neg_hi:[0,0,1]
	v_pk_add_f32 v[0:1], v[94:95], v[0:1]
	v_pk_add_f32 v[2:3], v[34:35], v[2:3]
	v_mov_b32_e32 v43, v5
	;; [unrolled: 4-line block ×6, first 2 shown]
	v_pk_add_f32 v[0:1], v[120:121], v[0:1]
	v_pk_add_f32 v[2:3], v[82:83], v[2:3]
	ds_write2_b64 v150, v[0:1], v[2:3] offset0:84 offset1:91
	v_pk_fma_f32 v[2:3], v[50:51], s[48:49], v[236:237] neg_lo:[0,0,1] neg_hi:[0,0,1]
	v_accvgpr_read_b32 v4, a226
	v_mov_b32_e32 v213, v3
	v_pk_fma_f32 v[2:3], v[60:61], s[28:29], v[232:233] neg_lo:[0,0,1] neg_hi:[0,0,1]
	v_accvgpr_read_b32 v5, a227
	v_mov_b32_e32 v99, v3
	v_pk_fma_f32 v[2:3], v[62:63], s[50:51], v[254:255] neg_lo:[0,0,1] neg_hi:[0,0,1]
	v_pk_fma_f32 v[4:5], v[50:51], s[20:21], v[4:5] neg_lo:[0,0,1] neg_hi:[0,0,1]
	v_mov_b32_e32 v155, v3
	v_pk_fma_f32 v[2:3], v[64:65], s[18:19], v[228:229] neg_lo:[0,0,1] neg_hi:[0,0,1]
	v_mov_b32_e32 v231, v5
	v_accvgpr_read_b32 v4, a254
	v_mov_b32_e32 v159, v3
	v_pk_fma_f32 v[2:3], v[18:19], s[16:17], v[224:225] neg_lo:[0,0,1] neg_hi:[0,0,1]
	v_accvgpr_read_b32 v5, a255
	v_mov_b32_e32 v161, v3
	v_pk_fma_f32 v[2:3], v[216:217], s[22:23], v[218:219] neg_lo:[0,0,1] neg_hi:[0,0,1]
	v_pk_fma_f32 v[4:5], v[60:61], s[24:25], v[4:5] neg_lo:[0,0,1] neg_hi:[0,0,1]
	v_accvgpr_read_b32 v0, a178
	v_mov_b32_e32 v165, v3
	v_accvgpr_read_b32 v2, a128
	v_mov_b32_e32 v235, v5
	v_accvgpr_read_b32 v4, a152
	v_accvgpr_read_b32 v1, a179
	;; [unrolled: 1-line block ×4, first 2 shown]
	v_pk_fma_f32 v[0:1], v[36:37], s[12:13], v[0:1] neg_lo:[0,0,1] neg_hi:[0,0,1]
	v_pk_fma_f32 v[2:3], v[36:37], s[14:15], v[2:3] neg_lo:[0,0,1] neg_hi:[0,0,1]
	;; [unrolled: 1-line block ×3, first 2 shown]
	v_mov_b32_e32 v185, v1
	v_accvgpr_read_b32 v0, a36
	v_mov_b32_e32 v223, v3
	v_accvgpr_read_b32 v2, a224
	;; [unrolled: 2-line block ×3, first 2 shown]
	v_accvgpr_read_b32 v1, a37
	v_accvgpr_read_b32 v3, a225
	v_accvgpr_read_b32 v5, a159
	v_pk_fma_f32 v[0:1], v[48:49], s[20:21], v[0:1] neg_lo:[0,0,1] neg_hi:[0,0,1]
	v_pk_fma_f32 v[2:3], v[48:49], s[16:17], v[2:3] neg_lo:[0,0,1] neg_hi:[0,0,1]
	v_pk_fma_f32 v[4:5], v[64:65], s[28:29], v[4:5] neg_lo:[0,0,1] neg_hi:[0,0,1]
	v_mov_b32_e32 v209, v1
	v_pk_add_f32 v[0:1], v[192:193], v[184:185]
	v_mov_b32_e32 v227, v3
	v_pk_add_f32 v[2:3], v[192:193], v[222:223]
	v_mov_b32_e32 v105, v5
	v_accvgpr_read_b32 v4, a176
	v_pk_add_f32 v[0:1], v[208:209], v[0:1]
	v_pk_add_f32 v[2:3], v[226:227], v[2:3]
	v_accvgpr_read_b32 v5, a177
	v_pk_add_f32 v[0:1], v[212:213], v[0:1]
	v_pk_add_f32 v[2:3], v[230:231], v[2:3]
	v_pk_fma_f32 v[4:5], v[18:19], s[30:31], v[4:5] neg_lo:[0,0,1] neg_hi:[0,0,1]
	v_pk_add_f32 v[0:1], v[98:99], v[0:1]
	v_pk_add_f32 v[2:3], v[234:235], v[2:3]
	v_mov_b32_e32 v93, v5
	v_accvgpr_read_b32 v4, a130
	v_pk_add_f32 v[0:1], v[154:155], v[0:1]
	v_pk_add_f32 v[2:3], v[238:239], v[2:3]
	v_accvgpr_read_b32 v5, a131
	v_pk_add_f32 v[0:1], v[158:159], v[0:1]
	v_pk_add_f32 v[2:3], v[104:105], v[2:3]
	v_pk_fma_f32 v[4:5], v[216:217], s[34:35], v[4:5] neg_lo:[0,0,1] neg_hi:[0,0,1]
	v_pk_add_f32 v[0:1], v[160:161], v[0:1]
	v_pk_add_f32 v[2:3], v[92:93], v[2:3]
	v_mov_b32_e32 v79, v5
	v_pk_add_f32 v[0:1], v[164:165], v[0:1]
	v_pk_add_f32 v[2:3], v[78:79], v[2:3]
	ds_write2_b64 v150, v[0:1], v[2:3] offset0:98 offset1:105
	v_accvgpr_read_b32 v2, a190
	v_accvgpr_read_b32 v5, a193
	v_accvgpr_read_b32 v6, a82
	v_mov_b32_e32 v0, v5
	v_accvgpr_read_b32 v7, a83
	v_accvgpr_read_b32 v4, a192
	v_pk_mul_f32 v[0:1], v[6:7], v[0:1] op_sel_hi:[1,0]
	s_waitcnt vmcnt(1)
	v_accvgpr_read_b32 v20, a194
	v_pk_fma_f32 v[8:9], v[6:7], v[4:5], v[0:1] op_sel:[0,0,1] op_sel_hi:[1,1,0] neg_lo:[0,0,1] neg_hi:[0,0,1]
	v_pk_fma_f32 v[0:1], v[6:7], v[4:5], v[0:1] op_sel:[0,0,1] op_sel_hi:[1,0,0]
	v_accvgpr_read_b32 v23, a197
	v_accvgpr_read_b32 v3, a191
	v_accvgpr_write_b32 a130, v4
	v_mov_b32_e32 v0, v23
	v_accvgpr_read_b32 v26, a232
	v_accvgpr_read_b32 v6, a250
	v_accvgpr_write_b32 a190, v5
	v_accvgpr_write_b32 a129, v3
	;; [unrolled: 1-line block ×3, first 2 shown]
	v_accvgpr_read_b32 v21, a195
	v_accvgpr_read_b32 v22, a196
	v_pk_mul_f32 v[4:5], v[80:81], v[0:1] op_sel_hi:[1,0]
	v_accvgpr_read_b32 v27, a233
	v_accvgpr_read_b32 v7, a251
	v_pk_mul_f32 v[2:3], v[40:41], v[20:21] op_sel:[0,1]
	v_pk_fma_f32 v[12:13], v[80:81], v[22:23], v[4:5] op_sel:[0,0,1] op_sel_hi:[1,0,0] neg_lo:[0,0,1] neg_hi:[0,0,1]
	v_pk_fma_f32 v[14:15], v[80:81], v[22:23], v[4:5] op_sel:[0,0,1] op_sel_hi:[1,0,0]
	v_accvgpr_write_b32 a226, v22
	v_pk_mul_f32 v[4:5], v[6:7], v[26:27] op_sel:[0,1]
	v_pk_fma_f32 v[10:11], v[40:41], v[20:21], v[2:3] op_sel:[0,0,1] op_sel_hi:[1,1,0] neg_lo:[0,0,1] neg_hi:[0,0,1]
	v_pk_fma_f32 v[2:3], v[40:41], v[20:21], v[2:3] op_sel:[0,0,1] op_sel_hi:[1,0,0]
	v_accvgpr_write_b32 a225, v21
	v_accvgpr_write_b32 a224, v20
	v_accvgpr_read_b32 v29, a235
	v_pk_fma_f32 v[16:17], v[6:7], v[26:27], v[4:5] op_sel:[0,0,1] op_sel_hi:[1,0,0] neg_lo:[0,0,1] neg_hi:[0,0,1]
	v_pk_fma_f32 v[20:21], v[6:7], v[26:27], v[4:5] op_sel:[0,0,1] op_sel_hi:[1,0,0]
	v_accvgpr_read_b32 v6, a198
	v_mov_b32_e32 v0, v29
	v_accvgpr_read_b32 v7, a199
	v_accvgpr_read_b32 v28, a234
	v_pk_mul_f32 v[4:5], v[6:7], v[0:1] op_sel_hi:[1,0]
	v_accvgpr_write_b32 a192, v23
	v_pk_fma_f32 v[22:23], v[6:7], v[28:29], v[4:5] op_sel:[0,0,1] op_sel_hi:[1,0,0] neg_lo:[0,0,1] neg_hi:[0,0,1]
	v_pk_fma_f32 v[24:25], v[6:7], v[28:29], v[4:5] op_sel:[0,0,1] op_sel_hi:[1,0,0]
	v_accvgpr_read_b32 v40, a228
	v_accvgpr_read_b32 v6, a252
	;; [unrolled: 1-line block ×5, first 2 shown]
	v_pk_mul_f32 v[4:5], v[6:7], v[40:41] op_sel:[0,1]
	v_mov_b32_e32 v0, v43
	v_accvgpr_write_b32 a194, v29
	v_accvgpr_read_b32 v42, a230
	v_pk_fma_f32 v[26:27], v[6:7], v[40:41], v[4:5] op_sel:[0,0,1] op_sel_hi:[1,0,0] neg_lo:[0,0,1] neg_hi:[0,0,1]
	v_pk_fma_f32 v[28:29], v[6:7], v[40:41], v[4:5] op_sel:[0,0,1] op_sel_hi:[1,0,0]
	v_pk_mul_f32 v[4:5], v[206:207], v[0:1] op_sel_hi:[1,0]
	v_accvgpr_write_b32 a196, v43
	v_pk_fma_f32 v[30:31], v[206:207], v[42:43], v[4:5] op_sel:[0,0,1] op_sel_hi:[1,0,0] neg_lo:[0,0,1] neg_hi:[0,0,1]
	v_pk_fma_f32 v[32:33], v[206:207], v[42:43], v[4:5] op_sel:[0,0,1] op_sel_hi:[1,0,0]
	v_accvgpr_read_b32 v40, a236
	v_accvgpr_read_b32 v41, a237
	v_pk_mul_f32 v[4:5], v[38:39], v[40:41] op_sel:[0,1]
	v_pk_fma_f32 v[6:7], v[38:39], v[40:41], v[4:5] op_sel:[0,0,1] op_sel_hi:[1,0,0] neg_lo:[0,0,1] neg_hi:[0,0,1]
	v_pk_fma_f32 v[4:5], v[38:39], v[40:41], v[4:5] op_sel:[0,0,1] op_sel_hi:[1,0,0]
	v_accvgpr_read_b32 v41, a31
	v_accvgpr_read_b32 v40, a30
	v_pk_fma_f32 v[36:37], v[36:37], s[18:19], v[40:41] neg_lo:[0,0,1] neg_hi:[0,0,1]
	v_accvgpr_read_b32 v40, a80
	v_accvgpr_read_b32 v41, a81
	v_pk_fma_f32 v[40:41], v[50:51], s[12:13], v[40:41] neg_lo:[0,0,1] neg_hi:[0,0,1]
	v_mov_b32_e32 v127, v41
	v_accvgpr_read_b32 v40, a240
	v_accvgpr_read_b32 v41, a241
	v_pk_fma_f32 v[40:41], v[60:61], s[16:17], v[40:41] neg_lo:[0,0,1] neg_hi:[0,0,1]
	v_mov_b32_e32 v123, v41
	v_accvgpr_read_b32 v40, a242
	v_mov_b32_e32 v147, v37
	v_accvgpr_read_b32 v36, a38
	v_accvgpr_read_b32 v41, a243
	;; [unrolled: 1-line block ×3, first 2 shown]
	v_pk_fma_f32 v[40:41], v[62:63], s[8:9], v[40:41] neg_lo:[0,0,1] neg_hi:[0,0,1]
	v_pk_fma_f32 v[36:37], v[48:49], s[14:15], v[36:37] neg_lo:[0,0,1] neg_hi:[0,0,1]
	v_mov_b32_e32 v113, v41
	v_accvgpr_read_b32 v40, a244
	v_mov_b32_e32 v143, v37
	v_pk_add_f32 v[36:37], v[192:193], v[146:147]
	v_accvgpr_read_b32 v41, a245
	v_pk_add_f32 v[36:37], v[142:143], v[36:37]
	v_pk_fma_f32 v[40:41], v[64:65], s[20:21], v[40:41] neg_lo:[0,0,1] neg_hi:[0,0,1]
	v_pk_add_f32 v[36:37], v[126:127], v[36:37]
	v_mov_b32_e32 v139, v41
	v_accvgpr_read_b32 v40, a246
	v_pk_add_f32 v[36:37], v[122:123], v[36:37]
	v_accvgpr_read_b32 v41, a247
	v_pk_add_f32 v[36:37], v[112:113], v[36:37]
	v_pk_fma_f32 v[18:19], v[18:19], s[22:23], v[40:41] neg_lo:[0,0,1] neg_hi:[0,0,1]
	v_accvgpr_read_b32 v43, a239
	v_pk_add_f32 v[36:37], v[138:139], v[36:37]
	v_mov_b32_e32 v215, v19
	v_mov_b32_e32 v0, v43
	v_pk_add_f32 v[18:19], v[214:215], v[36:37]
	v_accvgpr_read_b32 v36, a248
	v_accvgpr_read_b32 v51, a27
	;; [unrolled: 1-line block ×3, first 2 shown]
	v_pk_mul_f32 v[34:35], v[108:109], v[0:1] op_sel_hi:[1,0]
	v_accvgpr_read_b32 v37, a249
	v_mov_b32_e32 v0, v195
	v_accvgpr_read_b32 v50, a26
	v_accvgpr_read_b32 v64, a22
	;; [unrolled: 1-line block ×4, first 2 shown]
	v_pk_fma_f32 v[36:37], v[216:217], s[24:25], v[36:37] neg_lo:[0,0,1] neg_hi:[0,0,1]
	v_mov_b32_e32 v9, v1
	v_mov_b32_e32 v11, v3
	v_pk_add_f32 v[0:1], v[0:1], v[50:51]
	v_pk_add_f32 v[2:3], v[194:195], v[64:65]
	v_accvgpr_read_b32 v62, a52
	v_accvgpr_read_b32 v57, a61
	;; [unrolled: 1-line block ×4, first 2 shown]
	v_mov_b32_e32 v221, v37
	v_pk_add_f32 v[2:3], v[2:3], v[62:63]
	v_pk_add_f32 v[0:1], v[0:1], v[56:57]
	v_accvgpr_read_b32 v61, a63
	v_accvgpr_read_b32 v49, a65
	v_accvgpr_read_b32 v58, a68
	v_accvgpr_read_b32 v36, a70
	v_pk_add_f32 v[2:3], v[2:3], v[60:61]
	v_pk_add_f32 v[0:1], v[0:1], v[48:49]
	v_accvgpr_read_b32 v59, a69
	v_accvgpr_read_b32 v37, a71
	;; [unrolled: 1-line block ×5, first 2 shown]
	v_pk_add_f32 v[2:3], v[2:3], v[58:59]
	v_pk_add_f32 v[0:1], v[0:1], v[36:37]
	v_accvgpr_read_b32 v55, a75
	v_accvgpr_read_b32 v45, a203
	v_accvgpr_write_b32 a198, v43
	v_pk_fma_f32 v[38:39], v[108:109], v[42:43], v[34:35] op_sel:[0,0,1] op_sel_hi:[1,0,0] neg_lo:[0,0,1] neg_hi:[0,0,1]
	v_pk_fma_f32 v[34:35], v[108:109], v[42:43], v[34:35] op_sel:[0,0,1] op_sel_hi:[1,0,0]
	v_pk_add_f32 v[2:3], v[2:3], v[54:55]
	v_pk_add_f32 v[0:1], v[0:1], v[44:45]
	v_accvgpr_read_b32 v52, a72
	v_accvgpr_read_b32 v42, a200
	v_mov_b32_e32 v3, v0
	v_mov_b32_e32 v0, v52
	;; [unrolled: 1-line block ×3, first 2 shown]
	v_accvgpr_read_b32 v46, a204
	v_accvgpr_read_b32 v40, a206
	v_pk_add_f32 v[0:1], v[2:3], v[0:1]
	v_mov_b32_e32 v2, v46
	v_mov_b32_e32 v3, v40
	v_pk_add_f32 v[0:1], v[0:1], v[2:3]
	v_pk_add_f32 v[0:1], v[0:1], v[8:9]
	v_mov_b32_e32 v2, v12
	v_mov_b32_e32 v3, v15
	v_pk_add_f32 v[0:1], v[0:1], v[10:11]
	;; [unrolled: 4-line block ×3, first 2 shown]
	v_mov_b32_e32 v2, v22
	v_mov_b32_e32 v3, v25
	v_pk_add_f32 v[0:1], v[0:1], v[2:3]
	v_mov_b32_e32 v2, v26
	v_mov_b32_e32 v3, v29
	v_pk_add_f32 v[0:1], v[0:1], v[2:3]
	;; [unrolled: 3-line block ×4, first 2 shown]
	v_pk_add_f32 v[0:1], v[0:1], v[2:3]
	v_mov_b32_e32 v2, v38
	v_mov_b32_e32 v3, v35
	ds_write_b64 v150, v[18:19] offset:896
	v_pk_add_f32 v[18:19], v[0:1], v[2:3]
	v_accvgpr_read_b32 v0, a22
	v_accvgpr_read_b32 v1, a23
	v_pk_add_f32 v[154:155], v[0:1], v[38:39]
	v_pk_add_f32 v[0:1], v[0:1], v[38:39] neg_lo:[0,1] neg_hi:[0,1]
	v_accvgpr_read_b32 v39, a27
	v_accvgpr_read_b32 v38, a26
	v_mov_b32_e32 v2, v35
	v_pk_add_f32 v[160:161], v[38:39], v[2:3] neg_lo:[0,1] neg_hi:[0,1]
	v_accvgpr_read_b32 v2, a52
	v_mov_b32_e32 v1, v50
	v_accvgpr_read_b32 v3, a53
	v_pk_add_f32 v[50:51], v[0:1], v[34:35]
	v_pk_add_f32 v[156:157], v[2:3], v[6:7]
	v_pk_add_f32 v[34:35], v[2:3], v[6:7] neg_lo:[0,1] neg_hi:[0,1]
	v_mov_b32_e32 v2, v5
	v_pk_add_f32 v[64:65], v[56:57], v[2:3] neg_lo:[0,1] neg_hi:[0,1]
	v_accvgpr_read_b32 v2, a62
	v_accvgpr_read_b32 v3, a63
	v_pk_add_f32 v[158:159], v[2:3], v[30:31]
	v_pk_add_f32 v[30:31], v[2:3], v[30:31] neg_lo:[0,1] neg_hi:[0,1]
	v_mov_b32_e32 v2, v33
	v_mov_b32_e32 v1, v56
	v_pk_add_f32 v[62:63], v[48:49], v[2:3] neg_lo:[0,1] neg_hi:[0,1]
	v_accvgpr_read_b32 v2, a68
	v_pk_add_f32 v[164:165], v[0:1], v[4:5]
	v_accvgpr_read_b32 v3, a69
	v_accvgpr_read_b32 v4, a70
	v_mov_b32_e32 v1, v48
	v_pk_add_f32 v[162:163], v[2:3], v[26:27]
	v_pk_add_f32 v[26:27], v[2:3], v[26:27] neg_lo:[0,1] neg_hi:[0,1]
	v_accvgpr_read_b32 v5, a71
	v_mov_b32_e32 v2, v29
	v_pk_add_f32 v[184:185], v[0:1], v[32:33]
	v_mov_b32_e32 v1, v36
	v_pk_add_f32 v[208:209], v[4:5], v[2:3] neg_lo:[0,1] neg_hi:[0,1]
	v_accvgpr_read_b32 v2, a74
	v_pk_add_f32 v[36:37], v[0:1], v[28:29]
	v_accvgpr_read_b32 v3, a75
	v_mov_b32_e32 v1, v44
	v_pk_add_f32 v[166:167], v[2:3], v[22:23]
	v_pk_add_f32 v[22:23], v[2:3], v[22:23] neg_lo:[0,1] neg_hi:[0,1]
	v_pk_add_f32 v[48:49], v[0:1], v[24:25]
	v_mov_b32_e32 v2, v25
	v_mov_b32_e32 v1, v42
	v_pk_add_f32 v[212:213], v[44:45], v[2:3] neg_lo:[0,1] neg_hi:[0,1]
	v_accvgpr_read_b32 v2, a72
	v_pk_add_f32 v[60:61], v[0:1], v[20:21]
	v_mov_b32_e32 v1, v40
	v_mov_b32_e32 v155, v0
	v_accvgpr_read_b32 v3, a73
	v_pk_add_f32 v[218:219], v[0:1], v[14:15]
	v_pk_mul_f32 v[0:1], v[154:155], s[38:39]
	v_accvgpr_read_b32 v43, a201
	v_pk_add_f32 v[206:207], v[2:3], v[16:17]
	v_pk_add_f32 v[16:17], v[2:3], v[16:17] neg_lo:[0,1] neg_hi:[0,1]
	v_mov_b32_e32 v2, v21
	v_mov_b32_e32 v157, v34
	;; [unrolled: 1-line block ×3, first 2 shown]
	v_accvgpr_write_b32 a39, v1
	v_pk_add_f32 v[216:217], v[42:43], v[2:3] neg_lo:[0,1] neg_hi:[0,1]
	v_accvgpr_read_b32 v2, a204
	v_pk_add_f32 v[214:215], v[8:9], v[10:11]
	v_pk_add_f32 v[8:9], v[8:9], v[10:11] neg_lo:[0,1] neg_hi:[0,1]
	v_pk_fma_f32 v[10:11], v[160:161], s[18:19], v[0:1] neg_lo:[1,0,0] neg_hi:[1,0,0]
	v_pk_fma_f32 v[76:77], v[50:51], s[18:19], v[0:1]
	v_accvgpr_write_b32 a38, v0
	v_pk_mul_f32 v[0:1], v[156:157], s[40:41]
	v_accvgpr_read_b32 v3, a205
	v_mov_b32_e32 v164, v64
	v_accvgpr_write_b32 a23, v1
	v_mov_b32_e32 v159, v30
	v_pk_add_f32 v[210:211], v[2:3], v[12:13]
	v_pk_add_f32 v[12:13], v[2:3], v[12:13] neg_lo:[0,1] neg_hi:[0,1]
	v_mov_b32_e32 v2, v15
	v_mov_b32_e32 v11, v77
	v_pk_fma_f32 v[14:15], v[64:65], s[14:15], v[0:1] neg_lo:[1,0,0] neg_hi:[1,0,0]
	v_pk_fma_f32 v[98:99], v[164:165], s[14:15], v[0:1]
	v_accvgpr_write_b32 a22, v0
	v_pk_mul_f32 v[0:1], v[158:159], s[52:53]
	v_pk_add_f32 v[10:11], v[194:195], v[10:11]
	v_mov_b32_e32 v15, v99
	v_mov_b32_e32 v184, v62
	v_accvgpr_write_b32 a27, v1
	v_mov_b32_e32 v163, v26
	v_pk_add_f32 v[10:11], v[14:15], v[10:11]
	v_pk_fma_f32 v[14:15], v[62:63], s[12:13], v[0:1] neg_lo:[1,0,0] neg_hi:[1,0,0]
	v_pk_fma_f32 v[92:93], v[184:185], s[12:13], v[0:1]
	v_accvgpr_write_b32 a26, v0
	v_pk_mul_f32 v[0:1], v[162:163], s[42:43]
	v_mov_b32_e32 v15, v93
	v_mov_b32_e32 v36, v208
	v_accvgpr_write_b32 a31, v1
	v_mov_b32_e32 v167, v22
	v_pk_add_f32 v[10:11], v[14:15], v[10:11]
	v_pk_fma_f32 v[14:15], v[208:209], s[16:17], v[0:1] neg_lo:[1,0,0] neg_hi:[1,0,0]
	v_pk_fma_f32 v[72:73], v[36:37], s[16:17], v[0:1]
	v_accvgpr_write_b32 a30, v0
	v_pk_mul_f32 v[0:1], v[166:167], s[36:37]
	;; [unrolled: 9-line block ×3, first 2 shown]
	v_accvgpr_read_b32 v41, a207
	v_mov_b32_e32 v15, v97
	v_mov_b32_e32 v60, v216
	v_accvgpr_write_b32 a61, v1
	v_mov_b32_e32 v211, v12
	v_pk_add_f32 v[42:43], v[40:41], v[2:3] neg_lo:[0,1] neg_hi:[0,1]
	v_pk_add_f32 v[10:11], v[14:15], v[10:11]
	v_pk_fma_f32 v[14:15], v[216:217], s[20:21], v[0:1] neg_lo:[1,0,0] neg_hi:[1,0,0]
	v_pk_fma_f32 v[108:109], v[60:61], s[20:21], v[0:1]
	v_accvgpr_write_b32 a60, v0
	v_pk_mul_f32 v[0:1], v[210:211], s[46:47]
	v_mov_b32_e32 v218, v42
	v_accvgpr_write_b32 a63, v1
	v_mov_b32_e32 v121, v215
	v_mov_b32_e32 v215, v8
	v_pk_fma_f32 v[12:13], v[42:43], s[22:23], v[0:1] neg_lo:[1,0,0] neg_hi:[1,0,0]
	v_pk_fma_f32 v[112:113], v[218:219], s[22:23], v[0:1]
	v_accvgpr_write_b32 a62, v0
	v_pk_mul_f32 v[0:1], v[214:215], s[54:55]
	v_mov_b32_e32 v120, v9
	v_accvgpr_write_b32 a65, v1
	v_pk_fma_f32 v[8:9], v[120:121], s[24:25], v[0:1] neg_lo:[1,0,0] neg_hi:[1,0,0]
	v_pk_fma_f32 v[122:123], v[120:121], s[24:25], v[0:1]
	v_accvgpr_write_b32 a64, v0
	buffer_load_dword v1, off, s[76:79], 0  ; 4-byte Folded Reload
	v_accvgpr_read_b32 v0, a5
	v_mov_b32_e32 v15, v109
	v_mul_u32_u24_e32 v0, 0x77, v0
	v_pk_add_f32 v[10:11], v[14:15], v[10:11]
	v_mov_b32_e32 v13, v113
	v_add_u32_sdwa v0, v0, v151 dst_sel:DWORD dst_unused:UNUSED_PAD src0_sel:DWORD src1_sel:BYTE_0
	v_pk_add_f32 v[10:11], v[12:13], v[10:11]
	v_mov_b32_e32 v9, v123
	v_pk_add_f32 v[8:9], v[8:9], v[10:11]
	v_pk_mul_f32 v[136:137], v[154:155], s[52:53]
	v_pk_fma_f32 v[12:13], v[160:161], s[12:13], v[136:137] neg_lo:[1,0,0] neg_hi:[1,0,0]
	v_pk_fma_f32 v[68:69], v[50:51], s[12:13], v[136:137]
	v_pk_mul_f32 v[124:125], v[156:157], s[44:45]
	v_mov_b32_e32 v13, v69
	v_pk_fma_f32 v[66:67], v[164:165], s[20:21], v[124:125]
	v_pk_add_f32 v[16:17], v[194:195], v[12:13]
	v_pk_mul_f32 v[114:115], v[158:159], s[74:75]
	v_accvgpr_read_b32 v53, a73
	v_pk_fma_f32 v[22:23], v[62:63], s[48:49], v[114:115] neg_lo:[1,0,0] neg_hi:[1,0,0]
	v_pk_mul_f32 v[110:111], v[162:163], s[66:67]
	v_pk_fma_f32 v[26:27], v[208:209], s[28:29], v[110:111] neg_lo:[1,0,0] neg_hi:[1,0,0]
	v_pk_mul_f32 v[140:141], v[166:167], s[70:71]
	v_pk_mul_f32 v[106:107], v[166:167], s[64:65]
	v_pk_fma_f32 v[152:153], v[48:49], s[26:27], v[140:141]
	v_pk_fma_f32 v[30:31], v[212:213], s[50:51], v[106:107] neg_lo:[1,0,0] neg_hi:[1,0,0]
	v_pk_mul_f32 v[196:197], v[206:207], s[66:67]
	v_pk_mul_f32 v[100:101], v[206:207], s[38:39]
	v_pk_fma_f32 v[192:193], v[60:61], s[28:29], v[196:197]
	v_pk_fma_f32 v[38:39], v[216:217], s[18:19], v[100:101] neg_lo:[1,0,0] neg_hi:[1,0,0]
	v_pk_mul_f32 v[200:201], v[210:211], s[60:61]
	v_pk_fma_f32 v[198:199], v[218:219], s[30:31], v[200:201]
	v_pk_mul_f32 v[204:205], v[214:215], s[62:63]
	v_pk_mul_f32 v[142:143], v[214:215], s[46:47]
	v_pk_fma_f32 v[202:203], v[120:121], s[34:35], v[204:205]
	v_pk_fma_f32 v[126:127], v[120:121], s[22:23], v[142:143]
	v_accvgpr_read_b32 v47, a205
	v_pk_mul_f32 v[188:189], v[214:215], s[64:65]
	v_pk_fma_f32 v[186:187], v[120:121], s[50:51], v[188:189]
	v_pk_mul_f32 v[220:221], v[158:159], s[64:65]
	v_pk_fma_f32 v[116:117], v[62:63], s[50:51], v[220:221] neg_lo:[1,0,0] neg_hi:[1,0,0]
	v_pk_mul_f32 v[224:225], v[162:163], s[52:53]
	v_pk_fma_f32 v[222:223], v[36:37], s[12:13], v[224:225]
	v_pk_mul_f32 v[228:229], v[166:167], s[54:55]
	v_pk_fma_f32 v[226:227], v[48:49], s[24:25], v[228:229]
	;; [unrolled: 2-line block ×4, first 2 shown]
	v_pk_mul_f32 v[128:129], v[156:157], s[66:67]
	v_pk_fma_f32 v[130:131], v[64:65], s[28:29], v[128:129] neg_lo:[1,0,0] neg_hi:[1,0,0]
	v_pk_fma_f32 v[132:133], v[164:165], s[28:29], v[128:129]
	v_mov_b32_e32 v131, v133
	v_pk_mul_f32 v[248:249], v[156:157], s[60:61]
	v_pk_fma_f32 v[250:251], v[64:65], s[30:31], v[248:249] neg_lo:[1,0,0] neg_hi:[1,0,0]
	v_pk_fma_f32 v[252:253], v[164:165], s[30:31], v[248:249]
	v_mov_b32_e32 v251, v253
	v_accvgpr_write_b32 a171, v150
	v_pk_mul_f32 v[14:15], v[214:215], s[36:37]
	s_waitcnt vmcnt(0)
	v_lshl_add_u32 v70, v0, 3, v1
	v_pk_mul_f32 v[0:1], v[154:155], s[40:41]
	v_accvgpr_write_b32 a69, v1
	ds_write2_b64 v70, v[18:19], v[8:9] offset1:7
	v_pk_fma_f32 v[8:9], v[160:161], s[14:15], v[0:1] neg_lo:[1,0,0] neg_hi:[1,0,0]
	v_pk_fma_f32 v[74:75], v[50:51], s[14:15], v[0:1]
	v_accvgpr_write_b32 a68, v0
	v_pk_mul_f32 v[0:1], v[156:157], s[42:43]
	v_mov_b32_e32 v9, v75
	v_pk_fma_f32 v[10:11], v[64:65], s[16:17], v[0:1] neg_lo:[1,0,0] neg_hi:[1,0,0]
	v_pk_fma_f32 v[78:79], v[164:165], s[16:17], v[0:1]
	v_accvgpr_write_b32 a71, v1
	v_pk_fma_f32 v[18:19], v[64:65], s[20:21], v[124:125] neg_lo:[1,0,0] neg_hi:[1,0,0]
	v_pk_add_f32 v[8:9], v[194:195], v[8:9]
	v_accvgpr_write_b32 a70, v0
	v_mov_b32_e32 v11, v79
	v_pk_mul_f32 v[0:1], v[158:159], s[44:45]
	v_mov_b32_e32 v19, v67
	v_pk_add_f32 v[8:9], v[10:11], v[8:9]
	v_pk_fma_f32 v[10:11], v[62:63], s[20:21], v[0:1] neg_lo:[1,0,0] neg_hi:[1,0,0]
	v_pk_fma_f32 v[138:139], v[184:185], s[20:21], v[0:1]
	v_accvgpr_write_b32 a73, v1
	v_pk_add_f32 v[20:21], v[18:19], v[16:17]
	v_pk_fma_f32 v[18:19], v[184:185], s[48:49], v[114:115]
	v_accvgpr_write_b32 a72, v0
	v_mov_b32_e32 v11, v139
	v_pk_mul_f32 v[0:1], v[162:163], s[54:55]
	v_mov_b32_e32 v23, v19
	v_pk_add_f32 v[8:9], v[10:11], v[8:9]
	v_pk_fma_f32 v[10:11], v[208:209], s[24:25], v[0:1] neg_lo:[1,0,0] neg_hi:[1,0,0]
	v_pk_fma_f32 v[148:149], v[36:37], s[24:25], v[0:1]
	v_pk_add_f32 v[24:25], v[22:23], v[20:21]
	v_pk_fma_f32 v[20:21], v[36:37], s[28:29], v[110:111]
	v_mov_b32_e32 v11, v149
	v_mov_b32_e32 v27, v21
	v_pk_add_f32 v[8:9], v[10:11], v[8:9]
	v_pk_fma_f32 v[10:11], v[212:213], s[26:27], v[140:141] neg_lo:[1,0,0] neg_hi:[1,0,0]
	v_pk_add_f32 v[28:29], v[26:27], v[24:25]
	v_pk_fma_f32 v[24:25], v[48:49], s[50:51], v[106:107]
	v_mov_b32_e32 v11, v153
	v_mov_b32_e32 v31, v25
	v_pk_add_f32 v[8:9], v[10:11], v[8:9]
	v_pk_fma_f32 v[10:11], v[216:217], s[28:29], v[196:197] neg_lo:[1,0,0] neg_hi:[1,0,0]
	v_pk_add_f32 v[34:35], v[30:31], v[28:29]
	v_pk_fma_f32 v[28:29], v[60:61], s[18:19], v[100:101]
	v_mov_b32_e32 v11, v193
	v_mov_b32_e32 v39, v29
	v_pk_mul_f32 v[30:31], v[210:211], s[42:43]
	v_pk_add_f32 v[8:9], v[10:11], v[8:9]
	v_pk_fma_f32 v[10:11], v[42:43], s[30:31], v[200:201] neg_lo:[1,0,0] neg_hi:[1,0,0]
	v_pk_add_f32 v[34:35], v[38:39], v[34:35]
	v_pk_fma_f32 v[40:41], v[42:43], s[16:17], v[30:31] neg_lo:[1,0,0] neg_hi:[1,0,0]
	v_pk_fma_f32 v[38:39], v[218:219], s[16:17], v[30:31]
	v_mov_b32_e32 v11, v199
	v_mov_b32_e32 v41, v39
	v_pk_add_f32 v[8:9], v[10:11], v[8:9]
	v_pk_fma_f32 v[10:11], v[120:121], s[34:35], v[204:205] neg_lo:[1,0,0] neg_hi:[1,0,0]
	v_pk_add_f32 v[34:35], v[40:41], v[34:35]
	v_pk_fma_f32 v[40:41], v[120:121], s[22:23], v[142:143] neg_lo:[1,0,0] neg_hi:[1,0,0]
	v_mov_b32_e32 v11, v203
	v_mov_b32_e32 v41, v127
	v_pk_add_f32 v[32:33], v[10:11], v[8:9]
	v_pk_add_f32 v[34:35], v[40:41], v[34:35]
	ds_write2_b64 v70, v[32:33], v[34:35] offset0:14 offset1:21
	v_pk_mul_f32 v[34:35], v[154:155], s[42:43]
	v_pk_fma_f32 v[40:41], v[160:161], s[16:17], v[34:35] neg_lo:[1,0,0] neg_hi:[1,0,0]
	v_pk_fma_f32 v[32:33], v[50:51], s[16:17], v[34:35]
	v_mov_b32_e32 v41, v33
	v_pk_mul_f32 v[26:27], v[156:157], s[54:55]
	v_pk_add_f32 v[44:45], v[194:195], v[40:41]
	v_pk_fma_f32 v[46:47], v[64:65], s[24:25], v[26:27] neg_lo:[1,0,0] neg_hi:[1,0,0]
	v_pk_fma_f32 v[40:41], v[164:165], s[24:25], v[26:27]
	v_mov_b32_e32 v47, v41
	v_pk_add_f32 v[52:53], v[46:47], v[44:45]
	v_pk_mul_f32 v[46:47], v[158:159], s[66:67]
	v_pk_fma_f32 v[54:55], v[62:63], s[28:29], v[46:47] neg_lo:[1,0,0] neg_hi:[1,0,0]
	v_pk_fma_f32 v[44:45], v[184:185], s[28:29], v[46:47]
	v_mov_b32_e32 v55, v45
	v_pk_add_f32 v[56:57], v[54:55], v[52:53]
	v_pk_mul_f32 v[54:55], v[162:163], s[62:63]
	;; [unrolled: 5-line block ×5, first 2 shown]
	v_pk_fma_f32 v[90:91], v[42:43], s[56:57], v[86:87] neg_lo:[1,0,0] neg_hi:[1,0,0]
	v_pk_fma_f32 v[84:85], v[218:219], s[56:57], v[86:87]
	v_mov_b32_e32 v91, v85
	v_pk_add_f32 v[88:89], v[90:91], v[88:89]
	v_pk_fma_f32 v[90:91], v[120:121], s[50:51], v[188:189] neg_lo:[1,0,0] neg_hi:[1,0,0]
	v_mov_b32_e32 v91, v187
	v_pk_add_f32 v[104:105], v[90:91], v[88:89]
	v_pk_mul_f32 v[88:89], v[154:155], s[36:37]
	v_pk_fma_f32 v[90:91], v[160:161], s[8:9], v[88:89] neg_lo:[1,0,0] neg_hi:[1,0,0]
	v_pk_fma_f32 v[190:191], v[50:51], s[8:9], v[88:89]
	v_mov_b32_e32 v91, v191
	v_pk_mul_f32 v[22:23], v[156:157], s[70:71]
	v_pk_add_f32 v[94:95], v[194:195], v[90:91]
	v_pk_fma_f32 v[102:103], v[64:65], s[26:27], v[22:23] neg_lo:[1,0,0] neg_hi:[1,0,0]
	v_pk_fma_f32 v[90:91], v[164:165], s[26:27], v[22:23]
	v_mov_b32_e32 v103, v91
	v_pk_add_f32 v[102:103], v[102:103], v[94:95]
	v_pk_fma_f32 v[94:95], v[184:185], s[50:51], v[220:221]
	v_mov_b32_e32 v117, v95
	v_pk_add_f32 v[102:103], v[116:117], v[102:103]
	v_pk_fma_f32 v[116:117], v[208:209], s[12:13], v[224:225] neg_lo:[1,0,0] neg_hi:[1,0,0]
	v_mov_b32_e32 v117, v223
	v_pk_add_f32 v[102:103], v[116:117], v[102:103]
	v_pk_fma_f32 v[116:117], v[212:213], s[24:25], v[228:229] neg_lo:[1,0,0] neg_hi:[1,0,0]
	;; [unrolled: 3-line block ×4, first 2 shown]
	v_mov_b32_e32 v117, v235
	v_pk_add_f32 v[116:117], v[116:117], v[102:103]
	v_pk_mul_f32 v[102:103], v[214:215], s[44:45]
	v_pk_fma_f32 v[118:119], v[120:121], s[20:21], v[102:103] neg_lo:[1,0,0] neg_hi:[1,0,0]
	v_pk_fma_f32 v[238:239], v[120:121], s[20:21], v[102:103]
	v_mov_b32_e32 v119, v239
	v_pk_add_f32 v[116:117], v[118:119], v[116:117]
	ds_write2_b64 v70, v[104:105], v[116:117] offset0:28 offset1:35
	v_pk_mul_f32 v[104:105], v[154:155], s[44:45]
	v_pk_fma_f32 v[116:117], v[160:161], s[20:21], v[104:105] neg_lo:[1,0,0] neg_hi:[1,0,0]
	v_pk_fma_f32 v[118:119], v[50:51], s[20:21], v[104:105]
	v_mov_b32_e32 v117, v119
	v_pk_add_f32 v[116:117], v[194:195], v[116:117]
	v_pk_add_f32 v[116:117], v[130:131], v[116:117]
	v_pk_mul_f32 v[130:131], v[158:159], s[38:39]
	v_pk_fma_f32 v[134:135], v[62:63], s[18:19], v[130:131] neg_lo:[1,0,0] neg_hi:[1,0,0]
	v_pk_fma_f32 v[144:145], v[184:185], s[18:19], v[130:131]
	v_mov_b32_e32 v135, v145
	v_pk_add_f32 v[116:117], v[134:135], v[116:117]
	v_pk_mul_f32 v[134:135], v[162:163], s[46:47]
	v_pk_fma_f32 v[168:169], v[208:209], s[22:23], v[134:135] neg_lo:[1,0,0] neg_hi:[1,0,0]
	v_pk_fma_f32 v[170:171], v[36:37], s[22:23], v[134:135]
	v_mov_b32_e32 v169, v171
	v_pk_add_f32 v[116:117], v[168:169], v[116:117]
	v_pk_mul_f32 v[168:169], v[166:167], s[68:69]
	v_pk_fma_f32 v[172:173], v[212:213], s[58:59], v[168:169] neg_lo:[1,0,0] neg_hi:[1,0,0]
	v_pk_fma_f32 v[174:175], v[48:49], s[58:59], v[168:169]
	v_mov_b32_e32 v173, v175
	v_pk_add_f32 v[116:117], v[172:173], v[116:117]
	v_pk_mul_f32 v[172:173], v[206:207], s[40:41]
	v_pk_fma_f32 v[176:177], v[216:217], s[14:15], v[172:173] neg_lo:[1,0,0] neg_hi:[1,0,0]
	v_pk_fma_f32 v[178:179], v[60:61], s[14:15], v[172:173]
	v_mov_b32_e32 v177, v179
	v_pk_add_f32 v[116:117], v[176:177], v[116:117]
	v_pk_mul_f32 v[176:177], v[210:211], s[54:55]
	v_pk_fma_f32 v[180:181], v[42:43], s[24:25], v[176:177] neg_lo:[1,0,0] neg_hi:[1,0,0]
	v_pk_fma_f32 v[182:183], v[218:219], s[24:25], v[176:177]
	v_mov_b32_e32 v181, v183
	v_pk_add_f32 v[116:117], v[180:181], v[116:117]
	v_pk_mul_f32 v[180:181], v[214:215], s[60:61]
	v_pk_fma_f32 v[240:241], v[120:121], s[30:31], v[180:181] neg_lo:[1,0,0] neg_hi:[1,0,0]
	v_pk_fma_f32 v[242:243], v[120:121], s[30:31], v[180:181]
	v_mov_b32_e32 v241, v243
	v_pk_add_f32 v[116:117], v[240:241], v[116:117]
	v_pk_mul_f32 v[240:241], v[154:155], s[46:47]
	v_pk_fma_f32 v[244:245], v[160:161], s[22:23], v[240:241] neg_lo:[1,0,0] neg_hi:[1,0,0]
	v_pk_fma_f32 v[246:247], v[50:51], s[22:23], v[240:241]
	v_mov_b32_e32 v245, v247
	v_pk_add_f32 v[244:245], v[194:195], v[244:245]
	v_pk_add_f32 v[244:245], v[250:251], v[244:245]
	v_pk_mul_f32 v[250:251], v[158:159], s[42:43]
	v_pk_fma_f32 v[254:255], v[62:63], s[16:17], v[250:251] neg_lo:[1,0,0] neg_hi:[1,0,0]
	v_pk_fma_f32 v[10:11], v[184:185], s[16:17], v[250:251]
	v_mov_b32_e32 v255, v11
	v_pk_add_f32 v[244:245], v[254:255], v[244:245]
	v_pk_mul_f32 v[254:255], v[162:163], s[72:73]
	v_pk_fma_f32 v[146:147], v[208:209], s[56:57], v[254:255] neg_lo:[1,0,0] neg_hi:[1,0,0]
	v_pk_fma_f32 v[150:151], v[36:37], s[56:57], v[254:255]
	v_mov_b32_e32 v147, v151
	v_accvgpr_write_b32 a75, v1
	v_pk_add_f32 v[146:147], v[146:147], v[244:245]
	v_pk_mul_f32 v[244:245], v[166:167], s[38:39]
	v_accvgpr_write_b32 a74, v0
	v_pk_fma_f32 v[0:1], v[212:213], s[18:19], v[244:245] neg_lo:[1,0,0] neg_hi:[1,0,0]
	v_pk_fma_f32 v[8:9], v[48:49], s[18:19], v[244:245]
	v_mov_b32_e32 v1, v9
	v_pk_add_f32 v[2:3], v[0:1], v[146:147]
	v_pk_mul_f32 v[146:147], v[206:207], s[54:55]
	v_pk_fma_f32 v[0:1], v[216:217], s[24:25], v[146:147] neg_lo:[1,0,0] neg_hi:[1,0,0]
	v_pk_fma_f32 v[6:7], v[60:61], s[24:25], v[146:147]
	v_mov_b32_e32 v1, v7
	v_pk_mul_f32 v[16:17], v[210:211], s[64:65]
	v_pk_add_f32 v[2:3], v[0:1], v[2:3]
	v_pk_fma_f32 v[0:1], v[42:43], s[50:51], v[16:17] neg_lo:[1,0,0] neg_hi:[1,0,0]
	v_pk_fma_f32 v[4:5], v[218:219], s[50:51], v[16:17]
	v_mov_b32_e32 v1, v5
	v_pk_add_f32 v[12:13], v[0:1], v[2:3]
	v_pk_fma_f32 v[0:1], v[120:121], s[8:9], v[14:15] neg_lo:[1,0,0] neg_hi:[1,0,0]
	v_pk_fma_f32 v[2:3], v[120:121], s[8:9], v[14:15]
	v_mov_b32_e32 v1, v3
	v_pk_add_f32 v[0:1], v[0:1], v[12:13]
	ds_write2_b64 v70, v[116:117], v[0:1] offset0:42 offset1:49
	v_pk_mul_f32 v[0:1], v[154:155], s[54:55]
	v_pk_fma_f32 v[12:13], v[160:161], s[24:25], v[0:1] neg_lo:[1,0,0] neg_hi:[1,0,0]
	v_pk_fma_f32 v[116:117], v[50:51], s[24:25], v[0:1]
	v_pk_mul_f32 v[154:155], v[156:157], s[62:63]
	v_mov_b32_e32 v13, v117
	v_pk_fma_f32 v[64:65], v[64:65], s[34:35], v[154:155] neg_lo:[1,0,0] neg_hi:[1,0,0]
	v_pk_fma_f32 v[156:157], v[164:165], s[34:35], v[154:155]
	v_pk_add_f32 v[12:13], v[194:195], v[12:13]
	v_mov_b32_e32 v65, v157
	v_pk_add_f32 v[12:13], v[64:65], v[12:13]
	v_pk_mul_f32 v[64:65], v[158:159], s[46:47]
	v_pk_fma_f32 v[62:63], v[62:63], s[22:23], v[64:65] neg_lo:[1,0,0] neg_hi:[1,0,0]
	v_pk_fma_f32 v[158:159], v[184:185], s[22:23], v[64:65]
	v_mov_b32_e32 v63, v159
	v_pk_add_f32 v[12:13], v[62:63], v[12:13]
	v_pk_mul_f32 v[62:63], v[162:163], s[64:65]
	v_pk_fma_f32 v[160:161], v[208:209], s[50:51], v[62:63] neg_lo:[1,0,0] neg_hi:[1,0,0]
	v_pk_fma_f32 v[162:163], v[36:37], s[50:51], v[62:63]
	;; [unrolled: 5-line block ×3, first 2 shown]
	v_mov_b32_e32 v167, v209
	v_pk_add_f32 v[12:13], v[166:167], v[12:13]
	v_pk_mul_f32 v[166:167], v[206:207], s[60:61]
	v_pk_fma_f32 v[0:1], v[50:51], s[24:25], v[0:1] neg_lo:[0,0,1] neg_hi:[0,0,1]
	v_pk_fma_f32 v[206:207], v[216:217], s[30:31], v[166:167] neg_lo:[1,0,0] neg_hi:[1,0,0]
	v_pk_fma_f32 v[212:213], v[60:61], s[30:31], v[166:167]
	v_mov_b32_e32 v117, v1
	v_pk_fma_f32 v[0:1], v[164:165], s[34:35], v[154:155] neg_lo:[0,0,1] neg_hi:[0,0,1]
	v_mov_b32_e32 v207, v213
	v_mov_b32_e32 v157, v1
	v_pk_add_f32 v[0:1], v[194:195], v[116:117]
	v_pk_fma_f32 v[64:65], v[184:185], s[22:23], v[64:65] neg_lo:[0,0,1] neg_hi:[0,0,1]
	v_pk_add_f32 v[12:13], v[206:207], v[12:13]
	v_pk_mul_f32 v[206:207], v[210:211], s[36:37]
	v_pk_add_f32 v[0:1], v[156:157], v[0:1]
	v_mov_b32_e32 v159, v65
	v_pk_fma_f32 v[62:63], v[36:37], s[50:51], v[62:63] neg_lo:[0,0,1] neg_hi:[0,0,1]
	v_pk_fma_f32 v[42:43], v[42:43], s[8:9], v[206:207] neg_lo:[1,0,0] neg_hi:[1,0,0]
	v_pk_fma_f32 v[210:211], v[218:219], s[8:9], v[206:207]
	v_pk_add_f32 v[0:1], v[158:159], v[0:1]
	v_mov_b32_e32 v163, v63
	v_pk_fma_f32 v[62:63], v[48:49], s[20:21], v[160:161] neg_lo:[0,0,1] neg_hi:[0,0,1]
	v_mov_b32_e32 v43, v211
	v_pk_add_f32 v[0:1], v[162:163], v[0:1]
	v_mov_b32_e32 v209, v63
	v_pk_fma_f32 v[62:63], v[60:61], s[30:31], v[166:167] neg_lo:[0,0,1] neg_hi:[0,0,1]
	v_pk_add_f32 v[12:13], v[42:43], v[12:13]
	v_pk_mul_f32 v[42:43], v[214:215], s[68:69]
	v_pk_add_f32 v[0:1], v[208:209], v[0:1]
	v_mov_b32_e32 v213, v63
	v_pk_fma_f32 v[62:63], v[218:219], s[8:9], v[206:207] neg_lo:[0,0,1] neg_hi:[0,0,1]
	v_pk_fma_f32 v[214:215], v[120:121], s[58:59], v[42:43] neg_lo:[1,0,0] neg_hi:[1,0,0]
	v_pk_fma_f32 v[216:217], v[120:121], s[58:59], v[42:43]
	v_pk_add_f32 v[0:1], v[212:213], v[0:1]
	v_mov_b32_e32 v211, v63
	v_pk_fma_f32 v[42:43], v[120:121], s[58:59], v[42:43] neg_lo:[0,0,1] neg_hi:[0,0,1]
	v_mov_b32_e32 v215, v217
	v_pk_add_f32 v[0:1], v[210:211], v[0:1]
	v_mov_b32_e32 v217, v43
	v_pk_add_f32 v[12:13], v[214:215], v[12:13]
	v_pk_add_f32 v[0:1], v[216:217], v[0:1]
	ds_write2_b64 v70, v[12:13], v[0:1] offset0:56 offset1:63
	v_pk_fma_f32 v[0:1], v[50:51], s[22:23], v[240:241] neg_lo:[0,0,1] neg_hi:[0,0,1]
	v_mov_b32_e32 v247, v1
	v_pk_fma_f32 v[0:1], v[164:165], s[30:31], v[248:249] neg_lo:[0,0,1] neg_hi:[0,0,1]
	v_mov_b32_e32 v253, v1
	v_pk_add_f32 v[0:1], v[194:195], v[246:247]
	v_pk_fma_f32 v[12:13], v[184:185], s[16:17], v[250:251] neg_lo:[0,0,1] neg_hi:[0,0,1]
	v_pk_add_f32 v[0:1], v[252:253], v[0:1]
	v_mov_b32_e32 v11, v13
	v_pk_add_f32 v[0:1], v[10:11], v[0:1]
	v_pk_fma_f32 v[10:11], v[36:37], s[56:57], v[254:255] neg_lo:[0,0,1] neg_hi:[0,0,1]
	v_mov_b32_e32 v151, v11
	v_pk_fma_f32 v[10:11], v[48:49], s[18:19], v[244:245] neg_lo:[0,0,1] neg_hi:[0,0,1]
	v_pk_add_f32 v[0:1], v[150:151], v[0:1]
	v_mov_b32_e32 v9, v11
	v_pk_add_f32 v[0:1], v[8:9], v[0:1]
	v_pk_fma_f32 v[8:9], v[60:61], s[24:25], v[146:147] neg_lo:[0,0,1] neg_hi:[0,0,1]
	v_mov_b32_e32 v7, v9
	v_pk_add_f32 v[0:1], v[6:7], v[0:1]
	v_pk_fma_f32 v[6:7], v[218:219], s[50:51], v[16:17] neg_lo:[0,0,1] neg_hi:[0,0,1]
	;; [unrolled: 3-line block ×4, first 2 shown]
	v_mov_b32_e32 v119, v3
	v_pk_fma_f32 v[2:3], v[164:165], s[28:29], v[128:129] neg_lo:[0,0,1] neg_hi:[0,0,1]
	v_mov_b32_e32 v133, v3
	v_pk_add_f32 v[2:3], v[194:195], v[118:119]
	v_pk_fma_f32 v[4:5], v[184:185], s[18:19], v[130:131] neg_lo:[0,0,1] neg_hi:[0,0,1]
	v_pk_add_f32 v[2:3], v[132:133], v[2:3]
	v_mov_b32_e32 v145, v5
	v_pk_fma_f32 v[4:5], v[36:37], s[22:23], v[134:135] neg_lo:[0,0,1] neg_hi:[0,0,1]
	v_pk_add_f32 v[2:3], v[144:145], v[2:3]
	v_mov_b32_e32 v171, v5
	;; [unrolled: 3-line block ×6, first 2 shown]
	v_pk_add_f32 v[2:3], v[242:243], v[2:3]
	ds_write2_b64 v70, v[0:1], v[2:3] offset0:70 offset1:77
	v_pk_fma_f32 v[2:3], v[184:185], s[50:51], v[220:221] neg_lo:[0,0,1] neg_hi:[0,0,1]
	v_mov_b32_e32 v95, v3
	v_pk_fma_f32 v[2:3], v[36:37], s[12:13], v[224:225] neg_lo:[0,0,1] neg_hi:[0,0,1]
	v_mov_b32_e32 v223, v3
	;; [unrolled: 2-line block ×8, first 2 shown]
	v_pk_add_f32 v[2:3], v[194:195], v[32:33]
	v_pk_fma_f32 v[4:5], v[184:185], s[28:29], v[46:47] neg_lo:[0,0,1] neg_hi:[0,0,1]
	v_pk_add_f32 v[2:3], v[40:41], v[2:3]
	v_mov_b32_e32 v45, v5
	v_pk_fma_f32 v[4:5], v[36:37], s[34:35], v[54:55] neg_lo:[0,0,1] neg_hi:[0,0,1]
	v_pk_add_f32 v[2:3], v[44:45], v[2:3]
	v_mov_b32_e32 v53, v5
	;; [unrolled: 3-line block ×4, first 2 shown]
	v_pk_add_f32 v[2:3], v[80:81], v[2:3]
	buffer_load_dword v81, off, s[76:79], 0 ; 4-byte Folded Reload
	v_pk_fma_f32 v[0:1], v[50:51], s[8:9], v[88:89] neg_lo:[0,0,1] neg_hi:[0,0,1]
	v_mov_b32_e32 v191, v1
	v_pk_fma_f32 v[0:1], v[164:165], s[26:27], v[22:23] neg_lo:[0,0,1] neg_hi:[0,0,1]
	v_mov_b32_e32 v91, v1
	v_pk_add_f32 v[0:1], v[194:195], v[190:191]
	v_pk_add_f32 v[0:1], v[90:91], v[0:1]
	;; [unrolled: 1-line block ×5, first 2 shown]
	v_pk_fma_f32 v[4:5], v[218:219], s[56:57], v[86:87] neg_lo:[0,0,1] neg_hi:[0,0,1]
	v_pk_add_f32 v[0:1], v[230:231], v[0:1]
	v_mov_b32_e32 v85, v5
	v_pk_fma_f32 v[4:5], v[120:121], s[50:51], v[188:189] neg_lo:[0,0,1] neg_hi:[0,0,1]
	v_pk_add_f32 v[0:1], v[234:235], v[0:1]
	v_pk_add_f32 v[2:3], v[84:85], v[2:3]
	v_mov_b32_e32 v187, v5
	v_pk_add_f32 v[0:1], v[238:239], v[0:1]
	v_pk_add_f32 v[2:3], v[186:187], v[2:3]
	v_accvgpr_read_b32 v4, a72
	ds_write2_b64 v70, v[0:1], v[2:3] offset0:84 offset1:91
	v_pk_fma_f32 v[2:3], v[184:185], s[48:49], v[114:115] neg_lo:[0,0,1] neg_hi:[0,0,1]
	v_accvgpr_read_b32 v5, a73
	v_mov_b32_e32 v19, v3
	v_pk_fma_f32 v[2:3], v[36:37], s[28:29], v[110:111] neg_lo:[0,0,1] neg_hi:[0,0,1]
	v_pk_fma_f32 v[4:5], v[184:185], s[20:21], v[4:5] neg_lo:[0,0,1] neg_hi:[0,0,1]
	v_mov_b32_e32 v21, v3
	v_pk_fma_f32 v[2:3], v[48:49], s[50:51], v[106:107] neg_lo:[0,0,1] neg_hi:[0,0,1]
	v_mov_b32_e32 v139, v5
	v_accvgpr_read_b32 v4, a74
	v_mov_b32_e32 v25, v3
	v_pk_fma_f32 v[2:3], v[60:61], s[18:19], v[100:101] neg_lo:[0,0,1] neg_hi:[0,0,1]
	v_accvgpr_read_b32 v5, a75
	v_mov_b32_e32 v29, v3
	v_pk_fma_f32 v[2:3], v[218:219], s[16:17], v[30:31] neg_lo:[0,0,1] neg_hi:[0,0,1]
	v_pk_fma_f32 v[4:5], v[36:37], s[24:25], v[4:5] neg_lo:[0,0,1] neg_hi:[0,0,1]
	v_mov_b32_e32 v39, v3
	v_pk_fma_f32 v[2:3], v[120:121], s[22:23], v[142:143] neg_lo:[0,0,1] neg_hi:[0,0,1]
	v_mov_b32_e32 v149, v5
	;; [unrolled: 2-line block ×3, first 2 shown]
	v_accvgpr_read_b32 v2, a68
	v_mov_b32_e32 v153, v5
	v_pk_fma_f32 v[4:5], v[60:61], s[28:29], v[196:197] neg_lo:[0,0,1] neg_hi:[0,0,1]
	v_accvgpr_read_b32 v3, a69
	v_mov_b32_e32 v193, v5
	v_pk_fma_f32 v[4:5], v[218:219], s[30:31], v[200:201] neg_lo:[0,0,1] neg_hi:[0,0,1]
	v_pk_fma_f32 v[2:3], v[50:51], s[14:15], v[2:3] neg_lo:[0,0,1] neg_hi:[0,0,1]
	v_mov_b32_e32 v199, v5
	v_pk_fma_f32 v[4:5], v[120:121], s[34:35], v[204:205] neg_lo:[0,0,1] neg_hi:[0,0,1]
	v_mov_b32_e32 v75, v3
	v_accvgpr_read_b32 v2, a70
	v_mov_b32_e32 v203, v5
	v_accvgpr_read_b32 v4, a22
	v_pk_fma_f32 v[0:1], v[50:51], s[12:13], v[136:137] neg_lo:[0,0,1] neg_hi:[0,0,1]
	v_accvgpr_read_b32 v3, a71
	v_accvgpr_read_b32 v5, a23
	v_mov_b32_e32 v69, v1
	v_pk_fma_f32 v[0:1], v[164:165], s[20:21], v[124:125] neg_lo:[0,0,1] neg_hi:[0,0,1]
	v_pk_fma_f32 v[2:3], v[164:165], s[16:17], v[2:3] neg_lo:[0,0,1] neg_hi:[0,0,1]
	;; [unrolled: 1-line block ×3, first 2 shown]
	v_mov_b32_e32 v67, v1
	v_pk_add_f32 v[0:1], v[194:195], v[68:69]
	v_mov_b32_e32 v79, v3
	v_pk_add_f32 v[2:3], v[194:195], v[74:75]
	v_mov_b32_e32 v99, v5
	v_accvgpr_read_b32 v4, a26
	v_pk_add_f32 v[0:1], v[66:67], v[0:1]
	v_pk_add_f32 v[2:3], v[78:79], v[2:3]
	v_accvgpr_read_b32 v5, a27
	v_pk_add_f32 v[0:1], v[18:19], v[0:1]
	v_pk_add_f32 v[2:3], v[138:139], v[2:3]
	v_pk_fma_f32 v[4:5], v[184:185], s[12:13], v[4:5] neg_lo:[0,0,1] neg_hi:[0,0,1]
	v_pk_add_f32 v[0:1], v[20:21], v[0:1]
	v_pk_add_f32 v[2:3], v[148:149], v[2:3]
	v_mov_b32_e32 v93, v5
	v_accvgpr_read_b32 v4, a30
	v_pk_add_f32 v[0:1], v[24:25], v[0:1]
	v_pk_add_f32 v[2:3], v[152:153], v[2:3]
	v_accvgpr_read_b32 v5, a31
	v_pk_add_f32 v[0:1], v[28:29], v[0:1]
	v_pk_add_f32 v[2:3], v[192:193], v[2:3]
	v_pk_fma_f32 v[4:5], v[36:37], s[16:17], v[4:5] neg_lo:[0,0,1] neg_hi:[0,0,1]
	v_pk_add_f32 v[0:1], v[38:39], v[0:1]
	v_pk_add_f32 v[2:3], v[198:199], v[2:3]
	v_mov_b32_e32 v73, v5
	v_accvgpr_read_b32 v4, a52
	v_pk_add_f32 v[0:1], v[126:127], v[0:1]
	v_pk_add_f32 v[2:3], v[202:203], v[2:3]
	v_accvgpr_read_b32 v5, a53
	ds_write2_b64 v70, v[0:1], v[2:3] offset0:98 offset1:105
	v_accvgpr_read_b32 v0, a38
	v_pk_fma_f32 v[4:5], v[48:49], s[8:9], v[4:5] neg_lo:[0,0,1] neg_hi:[0,0,1]
	v_accvgpr_read_b32 v1, a39
	v_mov_b32_e32 v97, v5
	v_accvgpr_read_b32 v4, a60
	v_pk_fma_f32 v[0:1], v[50:51], s[18:19], v[0:1] neg_lo:[0,0,1] neg_hi:[0,0,1]
	v_accvgpr_read_b32 v5, a61
	v_mov_b32_e32 v77, v1
	v_pk_fma_f32 v[4:5], v[60:61], s[20:21], v[4:5] neg_lo:[0,0,1] neg_hi:[0,0,1]
	v_pk_add_f32 v[2:3], v[194:195], v[76:77]
	v_mov_b32_e32 v109, v5
	v_accvgpr_read_b32 v4, a62
	v_pk_add_f32 v[2:3], v[98:99], v[2:3]
	v_accvgpr_read_b32 v5, a63
	v_pk_add_f32 v[2:3], v[92:93], v[2:3]
	v_pk_fma_f32 v[4:5], v[218:219], s[22:23], v[4:5] neg_lo:[0,0,1] neg_hi:[0,0,1]
	v_pk_add_f32 v[2:3], v[72:73], v[2:3]
	v_mov_b32_e32 v113, v5
	v_accvgpr_read_b32 v4, a64
	v_accvgpr_read_b32 v178, a220
	v_pk_add_f32 v[2:3], v[96:97], v[2:3]
	v_accvgpr_read_b32 v5, a65
	v_accvgpr_read_b32 v116, a236
	;; [unrolled: 1-line block ×9, first 2 shown]
	v_accvgpr_mov_b32 a220, a224
	v_pk_add_f32 v[2:3], v[108:109], v[2:3]
	v_pk_fma_f32 v[4:5], v[120:121], s[24:25], v[4:5] neg_lo:[0,0,1] neg_hi:[0,0,1]
	v_accvgpr_read_b32 v117, a237
	v_accvgpr_read_b32 v129, a233
	;; [unrolled: 1-line block ×6, first 2 shown]
	v_accvgpr_mov_b32 a221, a225
	v_pk_add_f32 v[2:3], v[112:113], v[2:3]
	v_mov_b32_e32 v123, v5
	v_accvgpr_read_b32 v118, a238
	v_accvgpr_read_b32 v130, a234
	;; [unrolled: 1-line block ×6, first 2 shown]
	v_accvgpr_mov_b32 a222, a226
	v_mov_b32_e32 v74, v179
	v_mov_b32_e32 v80, v175
	;; [unrolled: 1-line block ×7, first 2 shown]
	v_accvgpr_read_b32 v164, a221
	v_pk_add_f32 v[2:3], v[122:123], v[2:3]
	v_accvgpr_write_b32 a177, v70
	ds_write_b64 v70, v[2:3] offset:896
	s_and_saveexec_b64 s[8:9], vcc
	s_cbranch_execz .LBB0_5
; %bb.4:
	v_accvgpr_read_b32 v2, a10
	v_accvgpr_read_b32 v4, a6
	;; [unrolled: 1-line block ×4, first 2 shown]
	v_pk_add_f32 v[2:3], v[2:3], v[4:5]
	v_accvgpr_read_b32 v4, a8
	v_accvgpr_read_b32 v5, a9
	v_pk_add_f32 v[2:3], v[2:3], v[4:5]
	v_accvgpr_read_b32 v4, a18
	v_accvgpr_read_b32 v5, a19
	;; [unrolled: 3-line block ×14, first 2 shown]
	v_accvgpr_read_b32 v5, a13
	v_and_b32_e32 v1, 0xff, v1
	v_pk_add_f32 v[2:3], v[2:3], v[4:5]
	v_accvgpr_read_b32 v4, a14
	s_waitcnt vmcnt(0)
	v_lshl_add_u32 v1, v1, 3, v81
	v_accvgpr_read_b32 v5, a15
	v_accvgpr_read_b32 v6, a108
	v_accvgpr_read_b32 v10, a124
	v_pk_add_f32 v[2:3], v[2:3], v[4:5]
	v_add_u32_e32 v4, 0x800, v1
	v_accvgpr_read_b32 v7, a109
	v_accvgpr_read_b32 v8, a110
	;; [unrolled: 1-line block ×4, first 2 shown]
	ds_write2_b64 v4, v[2:3], v[6:7] offset0:220 offset1:227
	ds_write2_b64 v4, v[8:9], v[10:11] offset0:234 offset1:241
	v_accvgpr_read_b32 v6, a140
	v_accvgpr_read_b32 v12, a126
	v_accvgpr_read_b32 v13, a127
	v_accvgpr_read_b32 v7, a141
	ds_write2_b64 v4, v[12:13], v[6:7] offset0:248 offset1:255
	v_accvgpr_read_b32 v4, a148
	v_accvgpr_read_b32 v10, a154
	;; [unrolled: 1-line block ×4, first 2 shown]
	v_add_u32_e32 v2, 0x1000, v1
	v_accvgpr_read_b32 v5, a149
	v_accvgpr_read_b32 v6, a150
	;; [unrolled: 1-line block ×4, first 2 shown]
	ds_write2_b64 v2, v[8:9], v[4:5] offset0:6 offset1:13
	ds_write2_b64 v2, v[6:7], v[10:11] offset0:20 offset1:27
	v_accvgpr_read_b32 v8, a144
	v_accvgpr_read_b32 v12, a156
	v_accvgpr_read_b32 v13, a157
	v_accvgpr_read_b32 v9, a145
	ds_write2_b64 v2, v[12:13], v[8:9] offset0:34 offset1:41
	v_accvgpr_read_b32 v6, a136
	v_accvgpr_read_b32 v10, a146
	v_accvgpr_read_b32 v11, a147
	v_accvgpr_read_b32 v7, a137
	;; [unrolled: 5-line block ×3, first 2 shown]
	v_accvgpr_read_b32 v6, a114
	v_accvgpr_read_b32 v7, a115
	ds_write2_b64 v2, v[8:9], v[4:5] offset0:62 offset1:69
	ds_write_b64 v1, v[6:7] offset:4704
.LBB0_5:
	s_or_b64 exec, exec, s[8:9]
	v_accvgpr_read_b32 v78, a32
	v_accvgpr_read_b32 v2, a0
	v_lshlrev_b32_e32 v1, 5, v78
	v_lshlrev_b32_e32 v2, 5, v2
	s_waitcnt lgkmcnt(0)
	; wave barrier
	s_waitcnt lgkmcnt(0)
	global_load_dwordx4 v[156:159], v1, s[2:3] offset:912
	global_load_dwordx4 v[160:163], v1, s[2:3] offset:896
	;; [unrolled: 1-line block ×4, first 2 shown]
	v_accvgpr_read_b32 v2, a2
	v_lshlrev_b32_e32 v2, 5, v2
	global_load_dwordx4 v[136:139], v2, s[2:3] offset:912
	global_load_dwordx4 v[144:147], v2, s[2:3] offset:896
	v_accvgpr_read_b32 v2, a3
	v_lshlrev_b32_e32 v2, 5, v2
	global_load_dwordx4 v[120:123], v2, s[2:3] offset:912
	global_load_dwordx4 v[132:135], v2, s[2:3] offset:896
	;; [unrolled: 4-line block ×3, first 2 shown]
	v_add_u32_e32 v2, 0xaa0, v1
	global_load_dwordx4 v[92:95], v2, s[2:3] offset:912
	global_load_dwordx4 v[100:103], v2, s[2:3] offset:896
	v_add_u32_e32 v1, 0xcc0, v1
	global_load_dwordx4 v[88:91], v1, s[2:3] offset:912
	global_load_dwordx4 v[96:99], v1, s[2:3] offset:896
	v_accvgpr_read_b32 v114, a215
	ds_read2_b64 v[188:191], v114 offset1:17
	ds_read2_b64 v[184:187], v114 offset0:102 offset1:119
	ds_read2_b64 v[4:7], v114 offset0:238 offset1:255
	;; [unrolled: 1-line block ×3, first 2 shown]
	v_add_u32_e32 v54, 0x800, v114
	v_add_u32_e32 v1, 0xc00, v114
	ds_read2_b64 v[20:23], v54 offset0:84 offset1:101
	ds_read2_b64 v[12:15], v54 offset0:220 offset1:237
	ds_read2_b64 v[16:19], v54 offset0:118 offset1:135
	ds_read2_b64 v[24:27], v54 offset0:16 offset1:33
	ds_read2_b64 v[30:33], v1 offset0:126 offset1:143
	v_add_u32_e32 v55, 0x1000, v114
	ds_read2_b64 v[68:71], v54 offset0:186 offset1:203
	s_mov_b32 s8, 0x3f737871
	s_mov_b32 s14, 0x3f167918
	;; [unrolled: 1-line block ×3, first 2 shown]
	s_waitcnt vmcnt(14)
	v_lshl_add_u32 v75, v78, 3, v81
	s_add_u32 s2, s0, 0x1298
	s_addc_u32 s3, s1, 0
	s_mov_b32 s20, 0x3f3bfb3b
	s_mov_b32 s18, 0xbf5ff5aa
	v_mov_b32_e32 v247, v246
	v_accvgpr_write_b32 a6, v246
	v_accvgpr_write_b32 a7, v247
	v_mov_b32_e32 v131, v130
	v_mov_b32_e32 v127, v126
	;; [unrolled: 1-line block ×4, first 2 shown]
	v_accvgpr_write_b32 a8, v164
	v_accvgpr_mov_b32 a4, a192
	v_accvgpr_mov_b32 a5, a192
	v_mov_b32_e32 v129, v128
	v_accvgpr_mov_b32 a48, a194
	v_accvgpr_mov_b32 a49, a194
	v_mov_b32_e32 v125, v124
	v_mov_b32_e32 v183, v182
	v_accvgpr_write_b32 a44, v182
	v_accvgpr_write_b32 a207, v127
	v_mov_b32_e32 v117, v116
	v_mov_b32_e32 v143, v142
	v_accvgpr_write_b32 a54, v142
	v_accvgpr_write_b32 a195, v119
	;; [unrolled: 1-line block ×4, first 2 shown]
	v_mov_b32_e32 v167, v166
	v_mov_b32_e32 v169, v168
	;; [unrolled: 1-line block ×10, first 2 shown]
	v_accvgpr_mov_b32 a131, a130
	v_accvgpr_mov_b32 a2, a190
	;; [unrolled: 1-line block ×4, first 2 shown]
	v_accvgpr_write_b32 a9, v165
	v_accvgpr_mov_b32 a223, a222
	v_accvgpr_write_b32 a45, v183
	v_accvgpr_write_b32 a206, v126
	;; [unrolled: 1-line block ×4, first 2 shown]
	v_accvgpr_mov_b32 a40, a196
	v_accvgpr_mov_b32 a41, a196
	v_accvgpr_write_b32 a55, v143
	v_accvgpr_write_b32 a194, v118
	v_accvgpr_write_b32 a193, v117
	s_waitcnt vmcnt(13)
	v_mov_b32_e32 v42, v159
	s_waitcnt vmcnt(12)
	v_mov_b32_e32 v46, v163
	s_waitcnt lgkmcnt(5)
	v_pk_mul_f32 v[28:29], v[22:23], v[156:157] op_sel:[0,1]
	v_pk_mul_f32 v[2:3], v[186:187], v[160:161] op_sel:[0,1]
	v_pk_mul_f32 v[46:47], v[4:5], v[46:47] op_sel_hi:[1,0]
	s_waitcnt vmcnt(8)
	v_mov_b32_e32 v48, v147
	v_pk_mul_f32 v[38:39], v[10:11], v[144:145] op_sel:[0,1]
	v_pk_fma_f32 v[52:53], v[22:23], v[156:157], v[28:29] op_sel:[0,0,1] op_sel_hi:[1,1,0] neg_lo:[0,0,1] neg_hi:[0,0,1]
	v_pk_fma_f32 v[22:23], v[22:23], v[156:157], v[28:29] op_sel:[0,0,1] op_sel_hi:[1,0,0]
	s_waitcnt lgkmcnt(4)
	v_pk_mul_f32 v[28:29], v[12:13], v[42:43] op_sel_hi:[1,0]
	v_pk_fma_f32 v[50:51], v[186:187], v[160:161], v[2:3] op_sel:[0,0,1] op_sel_hi:[1,1,0] neg_lo:[0,0,1] neg_hi:[0,0,1]
	v_pk_fma_f32 v[44:45], v[186:187], v[160:161], v[2:3] op_sel:[0,0,1] op_sel_hi:[1,0,0]
	v_pk_fma_f32 v[2:3], v[10:11], v[144:145], v[38:39] op_sel:[0,0,1] op_sel_hi:[1,1,0] neg_lo:[0,0,1] neg_hi:[0,0,1]
	v_pk_fma_f32 v[10:11], v[10:11], v[144:145], v[38:39] op_sel:[0,0,1] op_sel_hi:[1,0,0]
	s_waitcnt lgkmcnt(2)
	v_pk_mul_f32 v[38:39], v[24:25], v[48:49] op_sel_hi:[1,0]
	v_pk_fma_f32 v[72:73], v[4:5], v[162:163], v[46:47] op_sel:[0,0,1] op_sel_hi:[1,1,0] neg_lo:[0,0,1] neg_hi:[0,0,1]
	v_pk_fma_f32 v[4:5], v[4:5], v[162:163], v[46:47] op_sel:[0,0,1] op_sel_hi:[1,0,0]
	v_pk_fma_f32 v[76:77], v[12:13], v[158:159], v[28:29] op_sel:[0,0,1] op_sel_hi:[1,1,0] neg_lo:[0,0,1] neg_hi:[0,0,1]
	v_pk_fma_f32 v[12:13], v[12:13], v[158:159], v[28:29] op_sel:[0,0,1] op_sel_hi:[1,0,0]
	v_mov_b32_e32 v40, v155
	v_pk_mul_f32 v[34:35], v[8:9], v[152:153] op_sel:[0,1]
	v_mov_b32_e32 v3, v11
	v_mov_b32_e32 v73, v5
	;; [unrolled: 1-line block ×3, first 2 shown]
	v_pk_fma_f32 v[28:29], v[24:25], v[146:147], v[38:39] op_sel:[0,0,1] op_sel_hi:[1,1,0] neg_lo:[0,0,1] neg_hi:[0,0,1]
	v_pk_fma_f32 v[4:5], v[24:25], v[146:147], v[38:39] op_sel:[0,0,1] op_sel_hi:[1,0,0]
	ds_read2_b64 v[10:13], v114 offset0:170 offset1:187
	v_pk_fma_f32 v[42:43], v[8:9], v[152:153], v[34:35] op_sel:[0,0,1] op_sel_hi:[1,1,0] neg_lo:[0,0,1] neg_hi:[0,0,1]
	v_pk_fma_f32 v[8:9], v[8:9], v[152:153], v[34:35] op_sel:[0,0,1] op_sel_hi:[1,0,0]
	v_pk_mul_f32 v[34:35], v[6:7], v[40:41] op_sel_hi:[1,0]
	v_mov_b32_e32 v29, v5
	v_pk_mul_f32 v[4:5], v[18:19], v[136:137] op_sel:[0,1]
	v_mov_b32_e32 v62, v151
	v_mov_b32_e32 v60, v139
	v_pk_mul_f32 v[36:37], v[16:17], v[148:149] op_sel:[0,1]
	v_pk_fma_f32 v[48:49], v[6:7], v[154:155], v[34:35] op_sel:[0,0,1] op_sel_hi:[1,1,0] neg_lo:[0,0,1] neg_hi:[0,0,1]
	v_pk_fma_f32 v[6:7], v[6:7], v[154:155], v[34:35] op_sel:[0,0,1] op_sel_hi:[1,0,0]
	v_pk_fma_f32 v[34:35], v[18:19], v[136:137], v[4:5] op_sel:[0,0,1] op_sel_hi:[1,1,0] neg_lo:[0,0,1] neg_hi:[0,0,1]
	v_pk_fma_f32 v[4:5], v[18:19], v[136:137], v[4:5] op_sel:[0,0,1] op_sel_hi:[1,0,0]
	;; [unrolled: 2-line block ×3, first 2 shown]
	v_pk_mul_f32 v[36:37], v[14:15], v[62:63] op_sel_hi:[1,0]
	v_mov_b32_e32 v35, v5
	s_waitcnt lgkmcnt(2)
	v_pk_mul_f32 v[4:5], v[30:31], v[60:61] op_sel_hi:[1,0]
	v_mov_b32_e32 v51, v45
	v_mov_b32_e32 v43, v9
	v_pk_fma_f32 v[46:47], v[14:15], v[150:151], v[36:37] op_sel:[0,0,1] op_sel_hi:[1,1,0] neg_lo:[0,0,1] neg_hi:[0,0,1]
	v_pk_fma_f32 v[8:9], v[14:15], v[150:151], v[36:37] op_sel:[0,0,1] op_sel_hi:[1,0,0]
	v_pk_fma_f32 v[44:45], v[30:31], v[138:139], v[4:5] op_sel:[0,0,1] op_sel_hi:[1,1,0] neg_lo:[0,0,1] neg_hi:[0,0,1]
	v_pk_fma_f32 v[4:5], v[30:31], v[138:139], v[4:5] op_sel:[0,0,1] op_sel_hi:[1,0,0]
	ds_read2_b64 v[36:39], v54 offset0:152 offset1:169
	v_mov_b32_e32 v45, v5
	s_waitcnt vmcnt(6) lgkmcnt(1)
	v_pk_mul_f32 v[4:5], v[10:11], v[132:133] op_sel:[0,1]
	v_mov_b32_e32 v58, v135
	v_mov_b32_e32 v47, v9
	v_pk_fma_f32 v[8:9], v[10:11], v[132:133], v[4:5] op_sel:[0,0,1] op_sel_hi:[1,1,0] neg_lo:[0,0,1] neg_hi:[0,0,1]
	v_pk_fma_f32 v[4:5], v[10:11], v[132:133], v[4:5] op_sel:[0,0,1] op_sel_hi:[1,0,0]
	v_mov_b32_e32 v9, v5
	v_pk_mul_f32 v[4:5], v[26:27], v[58:59] op_sel_hi:[1,0]
	v_pk_fma_f32 v[18:19], v[26:27], v[134:135], v[4:5] op_sel:[0,0,1] op_sel_hi:[1,1,0] neg_lo:[0,0,1] neg_hi:[0,0,1]
	v_pk_fma_f32 v[4:5], v[26:27], v[134:135], v[4:5] op_sel:[0,0,1] op_sel_hi:[1,0,0]
	v_mov_b32_e32 v19, v5
	s_waitcnt lgkmcnt(0)
	v_pk_mul_f32 v[4:5], v[36:37], v[120:121] op_sel:[0,1]
	v_mov_b32_e32 v56, v123
	v_pk_fma_f32 v[24:25], v[36:37], v[120:121], v[4:5] op_sel:[0,0,1] op_sel_hi:[1,1,0] neg_lo:[0,0,1] neg_hi:[0,0,1]
	v_pk_fma_f32 v[4:5], v[36:37], v[120:121], v[4:5] op_sel:[0,0,1] op_sel_hi:[1,0,0]
	v_mov_b32_e32 v25, v5
	v_pk_mul_f32 v[4:5], v[32:33], v[56:57] op_sel_hi:[1,0]
	ds_read2_b64 v[56:59], v54 offset0:50 offset1:67
	v_pk_fma_f32 v[30:31], v[32:33], v[122:123], v[4:5] op_sel:[0,0,1] op_sel_hi:[1,1,0] neg_lo:[0,0,1] neg_hi:[0,0,1]
	v_pk_fma_f32 v[4:5], v[32:33], v[122:123], v[4:5] op_sel:[0,0,1] op_sel_hi:[1,0,0]
	v_mov_b32_e32 v31, v5
	s_waitcnt vmcnt(4)
	v_pk_mul_f32 v[4:5], v[12:13], v[108:109] op_sel:[0,1]
	v_mov_b32_e32 v66, v111
	v_mov_b32_e32 v49, v7
	ds_read2_b64 v[60:63], v55 offset0:32 offset1:49
	v_pk_fma_f32 v[6:7], v[12:13], v[108:109], v[4:5] op_sel:[0,0,1] op_sel_hi:[1,1,0] neg_lo:[0,0,1] neg_hi:[0,0,1]
	v_pk_fma_f32 v[4:5], v[12:13], v[108:109], v[4:5] op_sel:[0,0,1] op_sel_hi:[1,0,0]
	v_mov_b32_e32 v7, v5
	s_waitcnt lgkmcnt(1)
	v_pk_mul_f32 v[4:5], v[56:57], v[66:67] op_sel_hi:[1,0]
	v_mov_b32_e32 v41, v17
	v_pk_fma_f32 v[16:17], v[56:57], v[110:111], v[4:5] op_sel:[0,0,1] op_sel_hi:[1,1,0] neg_lo:[0,0,1] neg_hi:[0,0,1]
	v_pk_fma_f32 v[4:5], v[56:57], v[110:111], v[4:5] op_sel:[0,0,1] op_sel_hi:[1,0,0]
	v_mov_b32_e32 v17, v5
	v_pk_mul_f32 v[4:5], v[38:39], v[104:105] op_sel:[0,1]
	v_mov_b32_e32 v64, v107
	v_mov_b32_e32 v53, v23
	v_pk_fma_f32 v[22:23], v[38:39], v[104:105], v[4:5] op_sel:[0,0,1] op_sel_hi:[1,1,0] neg_lo:[0,0,1] neg_hi:[0,0,1]
	v_pk_fma_f32 v[4:5], v[38:39], v[104:105], v[4:5] op_sel:[0,0,1] op_sel_hi:[1,0,0]
	v_mov_b32_e32 v23, v5
	s_waitcnt lgkmcnt(0)
	v_pk_mul_f32 v[4:5], v[60:61], v[64:65] op_sel_hi:[1,0]
	ds_read2_b64 v[64:67], v114 offset0:204 offset1:221
	s_waitcnt vmcnt(2)
	v_mov_b32_e32 v140, v103
	v_pk_fma_f32 v[38:39], v[60:61], v[106:107], v[4:5] op_sel:[0,0,1] op_sel_hi:[1,1,0] neg_lo:[0,0,1] neg_hi:[0,0,1]
	v_pk_fma_f32 v[4:5], v[60:61], v[106:107], v[4:5] op_sel:[0,0,1] op_sel_hi:[1,0,0]
	v_mov_b32_e32 v39, v5
	s_waitcnt lgkmcnt(0)
	v_pk_mul_f32 v[12:13], v[64:65], v[100:101] op_sel:[0,1]
	v_pk_mul_f32 v[4:5], v[58:59], v[140:141] op_sel_hi:[1,0]
	v_pk_fma_f32 v[14:15], v[64:65], v[100:101], v[12:13] op_sel:[0,0,1] op_sel_hi:[1,1,0] neg_lo:[0,0,1] neg_hi:[0,0,1]
	v_pk_fma_f32 v[12:13], v[64:65], v[100:101], v[12:13] op_sel:[0,0,1] op_sel_hi:[1,0,0]
	v_mov_b32_e32 v112, v95
	v_pk_fma_f32 v[10:11], v[58:59], v[102:103], v[4:5] op_sel:[0,0,1] op_sel_hi:[1,1,0] neg_lo:[0,0,1] neg_hi:[0,0,1]
	v_pk_fma_f32 v[4:5], v[58:59], v[102:103], v[4:5] op_sel:[0,0,1] op_sel_hi:[1,0,0]
	v_mov_b32_e32 v15, v13
	v_pk_mul_f32 v[12:13], v[68:69], v[92:93] op_sel:[0,1]
	ds_read_b64 v[56:57], v114 offset:4624
	v_mov_b32_e32 v11, v5
	v_pk_mul_f32 v[4:5], v[62:63], v[112:113] op_sel_hi:[1,0]
	v_pk_fma_f32 v[36:37], v[68:69], v[92:93], v[12:13] op_sel:[0,0,1] op_sel_hi:[1,1,0] neg_lo:[0,0,1] neg_hi:[0,0,1]
	v_pk_fma_f32 v[12:13], v[68:69], v[92:93], v[12:13] op_sel:[0,0,1] op_sel_hi:[1,0,0]
	s_waitcnt vmcnt(0)
	v_mov_b32_e32 v84, v99
	v_pk_fma_f32 v[32:33], v[62:63], v[94:95], v[4:5] op_sel:[0,0,1] op_sel_hi:[1,1,0] neg_lo:[0,0,1] neg_hi:[0,0,1]
	v_pk_fma_f32 v[4:5], v[62:63], v[94:95], v[4:5] op_sel:[0,0,1] op_sel_hi:[1,0,0]
	v_mov_b32_e32 v37, v13
	v_pk_mul_f32 v[12:13], v[66:67], v[96:97] op_sel:[0,1]
	v_mov_b32_e32 v33, v5
	v_pk_fma_f32 v[4:5], v[66:67], v[96:97], v[12:13] op_sel:[0,0,1] op_sel_hi:[1,1,0] neg_lo:[0,0,1] neg_hi:[0,0,1]
	v_pk_fma_f32 v[12:13], v[66:67], v[96:97], v[12:13] op_sel:[0,0,1] op_sel_hi:[1,0,0]
	v_pk_mul_f32 v[26:27], v[20:21], v[84:85] op_sel_hi:[1,0]
	v_mov_b32_e32 v82, v91
	v_mov_b32_e32 v5, v13
	v_pk_fma_f32 v[12:13], v[20:21], v[98:99], v[26:27] op_sel:[0,0,1] op_sel_hi:[1,1,0] neg_lo:[0,0,1] neg_hi:[0,0,1]
	v_pk_fma_f32 v[20:21], v[20:21], v[98:99], v[26:27] op_sel:[0,0,1] op_sel_hi:[1,0,0]
	v_pk_mul_f32 v[26:27], v[70:71], v[88:89] op_sel:[0,1]
	v_mov_b32_e32 v13, v21
	v_pk_fma_f32 v[20:21], v[70:71], v[88:89], v[26:27] op_sel:[0,0,1] op_sel_hi:[1,1,0] neg_lo:[0,0,1] neg_hi:[0,0,1]
	v_pk_fma_f32 v[26:27], v[70:71], v[88:89], v[26:27] op_sel:[0,0,1] op_sel_hi:[1,0,0]
	s_waitcnt lgkmcnt(0)
	v_pk_mul_f32 v[58:59], v[56:57], v[82:83] op_sel_hi:[1,0]
	v_mov_b32_e32 v21, v27
	v_pk_fma_f32 v[26:27], v[56:57], v[90:91], v[58:59] op_sel:[0,0,1] op_sel_hi:[1,1,0] neg_lo:[0,0,1] neg_hi:[0,0,1]
	v_pk_fma_f32 v[56:57], v[56:57], v[90:91], v[58:59] op_sel:[0,0,1] op_sel_hi:[1,0,0]
	v_mov_b32_e32 v27, v57
	v_pk_add_f32 v[56:57], v[72:73], v[52:53]
	v_pk_add_f32 v[60:61], v[50:51], v[76:77] neg_lo:[0,1] neg_hi:[0,1]
	v_pk_add_f32 v[58:59], v[50:51], v[72:73] neg_lo:[0,1] neg_hi:[0,1]
	;; [unrolled: 1-line block ×3, first 2 shown]
	v_pk_fma_f32 v[56:57], v[56:57], 0.5, v[188:189] op_sel_hi:[1,0,1] neg_lo:[1,0,0] neg_hi:[1,0,0]
	v_pk_add_f32 v[62:63], v[58:59], v[62:63]
	v_pk_mul_f32 v[58:59], v[60:61], s[8:9] op_sel_hi:[1,0]
	v_pk_add_f32 v[66:67], v[72:73], v[52:53] neg_lo:[0,1] neg_hi:[0,1]
	v_pk_add_f32 v[64:65], v[56:57], v[58:59] op_sel:[0,1] op_sel_hi:[1,0]
	v_pk_add_f32 v[56:57], v[56:57], v[58:59] op_sel:[0,1] op_sel_hi:[1,0] neg_lo:[0,1] neg_hi:[0,1]
	v_pk_mul_f32 v[58:59], v[66:67], s[14:15] op_sel_hi:[1,0]
	v_pk_add_f32 v[68:69], v[56:57], v[58:59] op_sel:[0,1] op_sel_hi:[1,0] neg_lo:[0,1] neg_hi:[0,1]
	v_pk_add_f32 v[64:65], v[64:65], v[58:59] op_sel:[0,1] op_sel_hi:[1,0]
	v_mov_b32_e32 v56, v64
	v_mov_b32_e32 v57, v69
	v_pk_fma_f32 v[70:71], v[62:63], s[12:13], v[56:57] op_sel_hi:[1,0,1]
	ds_read2_b64 v[56:59], v114 offset0:34 offset1:51
	ds_read2_b64 v[192:195], v114 offset0:68 offset1:85
	ds_write_b64 v75, v[70:71] offset:952
	v_pk_add_f32 v[70:71], v[188:189], v[50:51]
	v_pk_add_f32 v[70:71], v[70:71], v[72:73]
	v_pk_add_f32 v[72:73], v[72:73], v[50:51] neg_lo:[0,1] neg_hi:[0,1]
	v_pk_add_f32 v[50:51], v[50:51], v[76:77]
	v_pk_add_f32 v[70:71], v[70:71], v[52:53]
	v_pk_add_f32 v[52:53], v[52:53], v[76:77] neg_lo:[0,1] neg_hi:[0,1]
	v_pk_fma_f32 v[50:51], v[50:51], 0.5, v[188:189] op_sel_hi:[1,0,1] neg_lo:[1,0,0] neg_hi:[1,0,0]
	v_pk_mul_f32 v[66:67], v[66:67], s[8:9] op_sel_hi:[1,0]
	v_pk_add_f32 v[52:53], v[72:73], v[52:53]
	v_pk_add_f32 v[72:73], v[50:51], v[66:67] op_sel:[0,1] op_sel_hi:[1,0] neg_lo:[0,1] neg_hi:[0,1]
	v_pk_add_f32 v[50:51], v[50:51], v[66:67] op_sel:[0,1] op_sel_hi:[1,0]
	v_pk_mul_f32 v[60:61], v[60:61], s[14:15] op_sel_hi:[1,0]
	v_pk_add_f32 v[50:51], v[50:51], v[60:61] op_sel:[0,1] op_sel_hi:[1,0] neg_lo:[0,1] neg_hi:[0,1]
	v_pk_add_f32 v[60:61], v[72:73], v[60:61] op_sel:[0,1] op_sel_hi:[1,0]
	v_mov_b32_e32 v66, v60
	v_mov_b32_e32 v67, v51
	;; [unrolled: 1-line block ×3, first 2 shown]
	v_pk_fma_f32 v[66:67], v[52:53], s[12:13], v[66:67] op_sel_hi:[1,0,1]
	v_pk_fma_f32 v[50:51], v[52:53], s[12:13], v[50:51] op_sel_hi:[1,0,1]
	v_pk_add_f32 v[52:53], v[190:191], v[42:43]
	v_pk_add_f32 v[52:53], v[52:53], v[48:49]
	v_mov_b32_e32 v69, v65
	v_pk_add_f32 v[52:53], v[52:53], v[40:41]
	ds_write_b64 v75, v[50:51] offset:2856
	v_pk_fma_f32 v[50:51], v[62:63], s[12:13], v[68:69] op_sel_hi:[1,0,1]
	v_pk_add_f32 v[52:53], v[52:53], v[46:47]
	v_pk_add_f32 v[70:71], v[70:71], v[76:77]
	ds_write_b64 v75, v[66:67] offset:1904
	ds_write_b64 v75, v[50:51] offset:3808
	ds_write2_b64 v114, v[70:71], v[52:53] offset1:17
	v_pk_add_f32 v[50:51], v[48:49], v[40:41]
	v_pk_add_f32 v[52:53], v[42:43], v[46:47] neg_lo:[0,1] neg_hi:[0,1]
	v_pk_add_f32 v[62:63], v[42:43], v[48:49] neg_lo:[0,1] neg_hi:[0,1]
	v_pk_add_f32 v[64:65], v[46:47], v[40:41] neg_lo:[0,1] neg_hi:[0,1]
	v_pk_fma_f32 v[50:51], v[50:51], 0.5, v[190:191] op_sel_hi:[1,0,1] neg_lo:[1,0,0] neg_hi:[1,0,0]
	v_pk_add_f32 v[62:63], v[62:63], v[64:65]
	v_pk_mul_f32 v[64:65], v[52:53], s[8:9] op_sel_hi:[1,0]
	v_pk_add_f32 v[60:61], v[42:43], v[46:47]
	v_pk_add_f32 v[66:67], v[50:51], v[64:65] op_sel:[0,1] op_sel_hi:[1,0]
	v_pk_add_f32 v[50:51], v[50:51], v[64:65] op_sel:[0,1] op_sel_hi:[1,0] neg_lo:[0,1] neg_hi:[0,1]
	v_pk_add_f32 v[64:65], v[48:49], v[40:41] neg_lo:[0,1] neg_hi:[0,1]
	v_pk_add_f32 v[42:43], v[48:49], v[42:43] neg_lo:[0,1] neg_hi:[0,1]
	;; [unrolled: 1-line block ×3, first 2 shown]
	v_pk_fma_f32 v[60:61], v[60:61], 0.5, v[190:191] op_sel_hi:[1,0,1] neg_lo:[1,0,0] neg_hi:[1,0,0]
	v_pk_add_f32 v[40:41], v[42:43], v[40:41]
	v_pk_mul_f32 v[42:43], v[64:65], s[8:9] op_sel_hi:[1,0]
	v_pk_add_f32 v[48:49], v[60:61], v[42:43] op_sel:[0,1] op_sel_hi:[1,0] neg_lo:[0,1] neg_hi:[0,1]
	v_pk_add_f32 v[42:43], v[60:61], v[42:43] op_sel:[0,1] op_sel_hi:[1,0]
	v_pk_mul_f32 v[52:53], v[52:53], s[14:15] op_sel_hi:[1,0]
	v_pk_mul_f32 v[68:69], v[64:65], s[14:15] op_sel_hi:[1,0]
	v_pk_add_f32 v[42:43], v[42:43], v[52:53] op_sel:[0,1] op_sel_hi:[1,0] neg_lo:[0,1] neg_hi:[0,1]
	v_pk_add_f32 v[48:49], v[48:49], v[52:53] op_sel:[0,1] op_sel_hi:[1,0]
	v_pk_add_f32 v[50:51], v[50:51], v[68:69] op_sel:[0,1] op_sel_hi:[1,0] neg_lo:[0,1] neg_hi:[0,1]
	v_pk_add_f32 v[66:67], v[66:67], v[68:69] op_sel:[0,1] op_sel_hi:[1,0]
	v_mov_b32_e32 v52, v48
	v_mov_b32_e32 v53, v43
	;; [unrolled: 1-line block ×4, first 2 shown]
	s_waitcnt lgkmcnt(6)
	v_pk_add_f32 v[46:47], v[56:57], v[2:3]
	v_pk_fma_f32 v[52:53], v[40:41], s[12:13], v[52:53] op_sel_hi:[1,0,1]
	v_pk_fma_f32 v[40:41], v[40:41], s[12:13], v[42:43] op_sel_hi:[1,0,1]
	v_mov_b32_e32 v51, v67
	v_mov_b32_e32 v68, v66
	v_pk_add_f32 v[46:47], v[46:47], v[28:29]
	ds_write_b64 v75, v[40:41] offset:2992
	v_pk_fma_f32 v[40:41], v[62:63], s[12:13], v[50:51] op_sel_hi:[1,0,1]
	v_pk_fma_f32 v[68:69], v[62:63], s[12:13], v[68:69] op_sel_hi:[1,0,1]
	v_pk_add_f32 v[46:47], v[46:47], v[34:35]
	ds_write_b64 v75, v[40:41] offset:3944
	v_pk_add_f32 v[40:41], v[28:29], v[34:35]
	v_pk_add_f32 v[42:43], v[2:3], v[44:45] neg_lo:[0,1] neg_hi:[0,1]
	v_pk_add_f32 v[50:51], v[28:29], v[34:35] neg_lo:[0,1] neg_hi:[0,1]
	;; [unrolled: 1-line block ×5, first 2 shown]
	v_pk_add_f32 v[2:3], v[2:3], v[44:45]
	v_pk_add_f32 v[34:35], v[34:35], v[44:45] neg_lo:[0,1] neg_hi:[0,1]
	v_pk_fma_f32 v[40:41], v[40:41], 0.5, v[56:57] op_sel_hi:[1,0,1] neg_lo:[1,0,0] neg_hi:[1,0,0]
	v_pk_mul_f32 v[48:49], v[42:43], s[8:9] op_sel_hi:[1,0]
	v_pk_fma_f32 v[2:3], v[2:3], 0.5, v[56:57] op_sel_hi:[1,0,1] neg_lo:[1,0,0] neg_hi:[1,0,0]
	v_pk_add_f32 v[28:29], v[28:29], v[34:35]
	v_pk_mul_f32 v[34:35], v[50:51], s[8:9] op_sel_hi:[1,0]
	v_pk_add_f32 v[60:61], v[58:59], v[8:9]
	v_pk_add_f32 v[62:63], v[62:63], v[64:65]
	v_pk_add_f32 v[64:65], v[40:41], v[48:49] op_sel:[0,1] op_sel_hi:[1,0]
	v_pk_add_f32 v[40:41], v[40:41], v[48:49] op_sel:[0,1] op_sel_hi:[1,0] neg_lo:[0,1] neg_hi:[0,1]
	v_pk_mul_f32 v[48:49], v[50:51], s[14:15] op_sel_hi:[1,0]
	v_pk_add_f32 v[50:51], v[2:3], v[34:35] op_sel:[0,1] op_sel_hi:[1,0] neg_lo:[0,1] neg_hi:[0,1]
	v_pk_add_f32 v[2:3], v[2:3], v[34:35] op_sel:[0,1] op_sel_hi:[1,0]
	v_pk_mul_f32 v[42:43], v[42:43], s[14:15] op_sel_hi:[1,0]
	v_pk_add_f32 v[60:61], v[60:61], v[18:19]
	v_pk_add_f32 v[2:3], v[2:3], v[42:43] op_sel:[0,1] op_sel_hi:[1,0] neg_lo:[0,1] neg_hi:[0,1]
	v_pk_add_f32 v[42:43], v[50:51], v[42:43] op_sel:[0,1] op_sel_hi:[1,0]
	v_pk_add_f32 v[60:61], v[60:61], v[24:25]
	v_mov_b32_e32 v50, v42
	v_mov_b32_e32 v51, v3
	;; [unrolled: 1-line block ×3, first 2 shown]
	v_pk_add_f32 v[46:47], v[46:47], v[44:45]
	v_pk_add_f32 v[60:61], v[60:61], v[30:31]
	v_pk_add_f32 v[40:41], v[40:41], v[48:49] op_sel:[0,1] op_sel_hi:[1,0] neg_lo:[0,1] neg_hi:[0,1]
	v_pk_add_f32 v[48:49], v[64:65], v[48:49] op_sel:[0,1] op_sel_hi:[1,0]
	v_pk_fma_f32 v[50:51], v[28:29], s[12:13], v[50:51] op_sel_hi:[1,0,1]
	v_pk_fma_f32 v[2:3], v[28:29], s[12:13], v[2:3] op_sel_hi:[1,0,1]
	v_pk_add_f32 v[28:29], v[18:19], v[24:25]
	v_pk_add_f32 v[42:43], v[8:9], v[30:31] neg_lo:[0,1] neg_hi:[0,1]
	ds_write_b64 v75, v[68:69] offset:1088
	ds_write_b64 v75, v[52:53] offset:2040
	v_mov_b32_e32 v34, v48
	v_mov_b32_e32 v35, v41
	;; [unrolled: 1-line block ×3, first 2 shown]
	ds_write2_b64 v114, v[46:47], v[60:61] offset0:34 offset1:51
	v_pk_fma_f32 v[28:29], v[28:29], 0.5, v[58:59] op_sel_hi:[1,0,1] neg_lo:[1,0,0] neg_hi:[1,0,0]
	v_pk_mul_f32 v[46:47], v[42:43], s[8:9] op_sel_hi:[1,0]
	v_pk_add_f32 v[48:49], v[18:19], v[24:25] neg_lo:[0,1] neg_hi:[0,1]
	v_pk_add_f32 v[56:57], v[8:9], v[18:19] neg_lo:[0,1] neg_hi:[0,1]
	;; [unrolled: 1-line block ×3, first 2 shown]
	v_pk_add_f32 v[56:57], v[56:57], v[60:61]
	v_pk_add_f32 v[60:61], v[28:29], v[46:47] op_sel:[0,1] op_sel_hi:[1,0]
	v_pk_add_f32 v[28:29], v[28:29], v[46:47] op_sel:[0,1] op_sel_hi:[1,0] neg_lo:[0,1] neg_hi:[0,1]
	v_pk_mul_f32 v[46:47], v[48:49], s[14:15] op_sel_hi:[1,0]
	v_pk_add_f32 v[28:29], v[28:29], v[46:47] op_sel:[0,1] op_sel_hi:[1,0] neg_lo:[0,1] neg_hi:[0,1]
	v_pk_add_f32 v[46:47], v[60:61], v[46:47] op_sel:[0,1] op_sel_hi:[1,0]
	v_mov_b32_e32 v60, v46
	v_mov_b32_e32 v61, v29
	v_pk_fma_f32 v[34:35], v[62:63], s[12:13], v[34:35] op_sel_hi:[1,0,1]
	v_pk_fma_f32 v[60:61], v[56:57], s[12:13], v[60:61] op_sel_hi:[1,0,1]
	ds_write2_b64 v114, v[34:35], v[60:61] offset0:153 offset1:170
	v_pk_add_f32 v[34:35], v[8:9], v[30:31]
	v_pk_add_f32 v[8:9], v[18:19], v[8:9] neg_lo:[0,1] neg_hi:[0,1]
	v_pk_add_f32 v[18:19], v[24:25], v[30:31] neg_lo:[0,1] neg_hi:[0,1]
	v_pk_fma_f32 v[34:35], v[34:35], 0.5, v[58:59] op_sel_hi:[1,0,1] neg_lo:[1,0,0] neg_hi:[1,0,0]
	v_pk_add_f32 v[8:9], v[8:9], v[18:19]
	v_pk_mul_f32 v[18:19], v[48:49], s[8:9] op_sel_hi:[1,0]
	v_pk_mul_f32 v[24:25], v[42:43], s[14:15] op_sel_hi:[1,0]
	v_pk_add_f32 v[30:31], v[34:35], v[18:19] op_sel:[0,1] op_sel_hi:[1,0] neg_lo:[0,1] neg_hi:[0,1]
	v_pk_add_f32 v[18:19], v[34:35], v[18:19] op_sel:[0,1] op_sel_hi:[1,0]
	v_pk_add_f32 v[18:19], v[18:19], v[24:25] op_sel:[0,1] op_sel_hi:[1,0] neg_lo:[0,1] neg_hi:[0,1]
	v_pk_add_f32 v[24:25], v[30:31], v[24:25] op_sel:[0,1] op_sel_hi:[1,0]
	v_mov_b32_e32 v30, v24
	v_mov_b32_e32 v31, v19
	;; [unrolled: 1-line block ×3, first 2 shown]
	v_pk_fma_f32 v[30:31], v[8:9], s[12:13], v[30:31] op_sel_hi:[1,0,1]
	v_pk_fma_f32 v[8:9], v[8:9], s[12:13], v[18:19] op_sel_hi:[1,0,1]
	ds_write2_b64 v54, v[2:3], v[8:9] offset0:135 offset1:152
	v_mov_b32_e32 v29, v47
	v_pk_add_f32 v[8:9], v[16:17], v[22:23]
	v_pk_add_f32 v[18:19], v[6:7], v[38:39] neg_lo:[0,1] neg_hi:[0,1]
	v_pk_fma_f32 v[2:3], v[56:57], s[12:13], v[28:29] op_sel_hi:[1,0,1]
	s_waitcnt lgkmcnt(12)
	v_pk_fma_f32 v[8:9], v[8:9], 0.5, v[192:193] op_sel_hi:[1,0,1] neg_lo:[1,0,0] neg_hi:[1,0,0]
	v_pk_mul_f32 v[24:25], v[18:19], s[8:9] op_sel_hi:[1,0]
	v_pk_add_f32 v[28:29], v[16:17], v[22:23] neg_lo:[0,1] neg_hi:[0,1]
	v_pk_add_f32 v[42:43], v[6:7], v[16:17] neg_lo:[0,1] neg_hi:[0,1]
	;; [unrolled: 1-line block ×3, first 2 shown]
	v_pk_add_f32 v[52:53], v[192:193], v[6:7]
	v_pk_mul_f32 v[34:35], v[28:29], s[14:15] op_sel_hi:[1,0]
	v_pk_add_f32 v[42:43], v[42:43], v[46:47]
	v_pk_add_f32 v[46:47], v[8:9], v[24:25] op_sel:[0,1] op_sel_hi:[1,0]
	v_pk_add_f32 v[52:53], v[52:53], v[16:17]
	v_pk_add_f32 v[8:9], v[8:9], v[24:25] op_sel:[0,1] op_sel_hi:[1,0] neg_lo:[0,1] neg_hi:[0,1]
	v_pk_add_f32 v[24:25], v[46:47], v[34:35] op_sel:[0,1] op_sel_hi:[1,0]
	v_pk_add_f32 v[46:47], v[6:7], v[38:39]
	v_pk_add_f32 v[6:7], v[16:17], v[6:7] neg_lo:[0,1] neg_hi:[0,1]
	v_pk_add_f32 v[16:17], v[22:23], v[38:39] neg_lo:[0,1] neg_hi:[0,1]
	v_pk_fma_f32 v[46:47], v[46:47], 0.5, v[192:193] op_sel_hi:[1,0,1] neg_lo:[1,0,0] neg_hi:[1,0,0]
	v_pk_add_f32 v[6:7], v[6:7], v[16:17]
	v_pk_mul_f32 v[16:17], v[28:29], s[8:9] op_sel_hi:[1,0]
	v_pk_add_f32 v[52:53], v[52:53], v[22:23]
	v_pk_mul_f32 v[18:19], v[18:19], s[14:15] op_sel_hi:[1,0]
	v_pk_add_f32 v[22:23], v[46:47], v[16:17] op_sel:[0,1] op_sel_hi:[1,0] neg_lo:[0,1] neg_hi:[0,1]
	v_pk_add_f32 v[16:17], v[46:47], v[16:17] op_sel:[0,1] op_sel_hi:[1,0]
	v_pk_add_f32 v[64:65], v[194:195], v[14:15]
	v_pk_add_f32 v[8:9], v[8:9], v[34:35] op_sel:[0,1] op_sel_hi:[1,0] neg_lo:[0,1] neg_hi:[0,1]
	v_pk_add_f32 v[16:17], v[16:17], v[18:19] op_sel:[0,1] op_sel_hi:[1,0] neg_lo:[0,1] neg_hi:[0,1]
	v_pk_add_f32 v[18:19], v[22:23], v[18:19] op_sel:[0,1] op_sel_hi:[1,0]
	v_pk_add_f32 v[64:65], v[64:65], v[10:11]
	v_mov_b32_e32 v35, v9
	v_mov_b32_e32 v22, v18
	;; [unrolled: 1-line block ×4, first 2 shown]
	v_pk_add_f32 v[64:65], v[64:65], v[36:37]
	v_pk_fma_f32 v[22:23], v[6:7], s[12:13], v[22:23] op_sel_hi:[1,0,1]
	v_pk_fma_f32 v[8:9], v[42:43], s[12:13], v[8:9] op_sel_hi:[1,0,1]
	v_pk_add_f32 v[52:53], v[52:53], v[38:39]
	v_pk_add_f32 v[64:65], v[64:65], v[32:33]
	ds_write2_b64 v54, v[30:31], v[22:23] offset0:33 offset1:50
	v_mov_b32_e32 v17, v19
	ds_write2_b64 v55, v[2:3], v[8:9] offset0:15 offset1:32
	ds_write2_b64 v114, v[52:53], v[64:65] offset0:68 offset1:85
	v_pk_add_f32 v[2:3], v[10:11], v[36:37]
	v_pk_add_f32 v[8:9], v[14:15], v[32:33] neg_lo:[0,1] neg_hi:[0,1]
	v_mov_b32_e32 v34, v24
	v_pk_fma_f32 v[6:7], v[6:7], s[12:13], v[16:17] op_sel_hi:[1,0,1]
	v_pk_fma_f32 v[2:3], v[2:3], 0.5, v[194:195] op_sel_hi:[1,0,1] neg_lo:[1,0,0] neg_hi:[1,0,0]
	v_pk_mul_f32 v[16:17], v[8:9], s[8:9] op_sel_hi:[1,0]
	v_pk_add_f32 v[18:19], v[10:11], v[36:37] neg_lo:[0,1] neg_hi:[0,1]
	v_pk_add_f32 v[24:25], v[14:15], v[10:11] neg_lo:[0,1] neg_hi:[0,1]
	;; [unrolled: 1-line block ×3, first 2 shown]
	v_pk_mul_f32 v[22:23], v[18:19], s[14:15] op_sel_hi:[1,0]
	v_pk_add_f32 v[24:25], v[24:25], v[28:29]
	v_pk_add_f32 v[28:29], v[2:3], v[16:17] op_sel:[0,1] op_sel_hi:[1,0]
	v_pk_add_f32 v[2:3], v[2:3], v[16:17] op_sel:[0,1] op_sel_hi:[1,0] neg_lo:[0,1] neg_hi:[0,1]
	v_pk_add_f32 v[2:3], v[2:3], v[22:23] op_sel:[0,1] op_sel_hi:[1,0] neg_lo:[0,1] neg_hi:[0,1]
	v_pk_add_f32 v[16:17], v[28:29], v[22:23] op_sel:[0,1] op_sel_hi:[1,0]
	v_mov_b32_e32 v22, v16
	v_mov_b32_e32 v23, v3
	v_pk_fma_f32 v[34:35], v[42:43], s[12:13], v[34:35] op_sel_hi:[1,0,1]
	v_pk_fma_f32 v[22:23], v[24:25], s[12:13], v[22:23] op_sel_hi:[1,0,1]
	ds_write2_b64 v114, v[34:35], v[22:23] offset0:187 offset1:204
	v_pk_add_f32 v[22:23], v[14:15], v[32:33]
	v_pk_add_f32 v[10:11], v[10:11], v[14:15] neg_lo:[0,1] neg_hi:[0,1]
	v_pk_add_f32 v[14:15], v[36:37], v[32:33] neg_lo:[0,1] neg_hi:[0,1]
	v_pk_fma_f32 v[22:23], v[22:23], 0.5, v[194:195] op_sel_hi:[1,0,1] neg_lo:[1,0,0] neg_hi:[1,0,0]
	v_pk_add_f32 v[10:11], v[10:11], v[14:15]
	v_pk_mul_f32 v[14:15], v[18:19], s[8:9] op_sel_hi:[1,0]
	v_pk_mul_f32 v[8:9], v[8:9], s[14:15] op_sel_hi:[1,0]
	v_pk_add_f32 v[18:19], v[22:23], v[14:15] op_sel:[0,1] op_sel_hi:[1,0] neg_lo:[0,1] neg_hi:[0,1]
	v_pk_add_f32 v[14:15], v[22:23], v[14:15] op_sel:[0,1] op_sel_hi:[1,0]
	v_pk_add_f32 v[14:15], v[14:15], v[8:9] op_sel:[0,1] op_sel_hi:[1,0] neg_lo:[0,1] neg_hi:[0,1]
	v_pk_add_f32 v[8:9], v[18:19], v[8:9] op_sel:[0,1] op_sel_hi:[1,0]
	v_mov_b32_e32 v19, v15
	v_mov_b32_e32 v15, v9
	;; [unrolled: 1-line block ×3, first 2 shown]
	v_pk_fma_f32 v[8:9], v[10:11], s[12:13], v[14:15] op_sel_hi:[1,0,1]
	ds_write2_b64 v54, v[6:7], v[8:9] offset0:169 offset1:186
	v_mov_b32_e32 v3, v17
	v_pk_add_f32 v[6:7], v[12:13], v[20:21]
	v_pk_add_f32 v[8:9], v[4:5], v[26:27] neg_lo:[0,1] neg_hi:[0,1]
	v_pk_fma_f32 v[18:19], v[10:11], s[12:13], v[18:19] op_sel_hi:[1,0,1]
	v_pk_fma_f32 v[2:3], v[24:25], s[12:13], v[2:3] op_sel_hi:[1,0,1]
	v_pk_fma_f32 v[6:7], v[6:7], 0.5, v[184:185] op_sel_hi:[1,0,1] neg_lo:[1,0,0] neg_hi:[1,0,0]
	v_pk_mul_f32 v[10:11], v[8:9], s[8:9] op_sel_hi:[1,0]
	v_pk_add_f32 v[14:15], v[12:13], v[20:21] neg_lo:[0,1] neg_hi:[0,1]
	v_pk_add_f32 v[22:23], v[4:5], v[12:13] neg_lo:[0,1] neg_hi:[0,1]
	;; [unrolled: 1-line block ×3, first 2 shown]
	v_pk_mul_f32 v[16:17], v[14:15], s[14:15] op_sel_hi:[1,0]
	v_pk_add_f32 v[22:23], v[22:23], v[24:25]
	v_pk_add_f32 v[24:25], v[6:7], v[10:11] op_sel:[0,1] op_sel_hi:[1,0]
	v_pk_add_f32 v[6:7], v[6:7], v[10:11] op_sel:[0,1] op_sel_hi:[1,0] neg_lo:[0,1] neg_hi:[0,1]
	v_pk_add_f32 v[6:7], v[6:7], v[16:17] op_sel:[0,1] op_sel_hi:[1,0] neg_lo:[0,1] neg_hi:[0,1]
	v_pk_add_f32 v[10:11], v[24:25], v[16:17] op_sel:[0,1] op_sel_hi:[1,0]
	v_mov_b32_e32 v16, v10
	v_mov_b32_e32 v17, v7
	v_pk_add_f32 v[44:45], v[184:185], v[4:5]
	v_pk_fma_f32 v[16:17], v[22:23], s[12:13], v[16:17] op_sel_hi:[1,0,1]
	v_add_u32_e32 v28, 0x400, v114
	v_pk_add_f32 v[44:45], v[44:45], v[12:13]
	ds_write2_b64 v28, v[16:17], v[50:51] offset0:93 offset1:144
	v_pk_add_f32 v[16:17], v[4:5], v[26:27]
	v_pk_add_f32 v[4:5], v[12:13], v[4:5] neg_lo:[0,1] neg_hi:[0,1]
	v_pk_add_f32 v[12:13], v[20:21], v[26:27] neg_lo:[0,1] neg_hi:[0,1]
	v_pk_fma_f32 v[16:17], v[16:17], 0.5, v[184:185] op_sel_hi:[1,0,1] neg_lo:[1,0,0] neg_hi:[1,0,0]
	v_pk_add_f32 v[4:5], v[4:5], v[12:13]
	v_pk_mul_f32 v[12:13], v[14:15], s[8:9] op_sel_hi:[1,0]
	v_pk_mul_f32 v[8:9], v[8:9], s[14:15] op_sel_hi:[1,0]
	v_pk_add_f32 v[14:15], v[16:17], v[12:13] op_sel:[0,1] op_sel_hi:[1,0] neg_lo:[0,1] neg_hi:[0,1]
	v_pk_add_f32 v[12:13], v[16:17], v[12:13] op_sel:[0,1] op_sel_hi:[1,0]
	v_pk_add_f32 v[12:13], v[12:13], v[8:9] op_sel:[0,1] op_sel_hi:[1,0] neg_lo:[0,1] neg_hi:[0,1]
	v_pk_add_f32 v[8:9], v[14:15], v[8:9] op_sel:[0,1] op_sel_hi:[1,0]
	v_mov_b32_e32 v14, v8
	v_mov_b32_e32 v15, v13
	;; [unrolled: 1-line block ×3, first 2 shown]
	v_pk_add_f32 v[44:45], v[44:45], v[20:21]
	v_pk_fma_f32 v[40:41], v[62:63], s[12:13], v[40:41] op_sel_hi:[1,0,1]
	v_pk_fma_f32 v[14:15], v[4:5], s[12:13], v[14:15] op_sel_hi:[1,0,1]
	;; [unrolled: 1-line block ×3, first 2 shown]
	v_mov_b32_e32 v7, v11
	v_pk_add_f32 v[44:45], v[44:45], v[26:27]
	ds_write2_b64 v54, v[4:5], v[40:41] offset0:203 offset1:254
	v_pk_fma_f32 v[4:5], v[22:23], s[12:13], v[6:7] op_sel_hi:[1,0,1]
	v_lshlrev_b32_e32 v29, 3, v78
	ds_write_b64 v114, v[44:45] offset:816
	ds_write2_b64 v54, v[18:19], v[14:15] offset0:67 offset1:84
	ds_write2_b64 v55, v[2:3], v[4:5] offset0:49 offset1:66
	s_waitcnt lgkmcnt(0)
	; wave barrier
	s_waitcnt lgkmcnt(0)
	global_load_dwordx2 v[4:5], v29, s[2:3]
	global_load_dwordx2 v[6:7], v29, s[2:3] offset:1360
	global_load_dwordx2 v[8:9], v29, s[2:3] offset:2720
	;; [unrolled: 1-line block ×7, first 2 shown]
	v_mov_b32_e32 v2, s3
	v_add_co_u32_e64 v3, s[0:1], s2, v29
	s_movk_i32 s8, 0x1000
	v_addc_co_u32_e64 v20, s[0:1], 0, v2, s[0:1]
	v_add_co_u32_e64 v2, s[0:1], s8, v3
	v_addc_co_u32_e64 v3, s[0:1], 0, v20, s[0:1]
	global_load_dwordx2 v[20:21], v[2:3], off offset:120
	global_load_dwordx2 v[26:27], v29, s[2:3] offset:952
	global_load_dwordx2 v[24:25], v29, s[2:3] offset:2176
	;; [unrolled: 1-line block ×6, first 2 shown]
	ds_read2_b64 v[30:33], v114 offset1:17
	global_load_dwordx2 v[52:53], v29, s[2:3] offset:680
	global_load_dwordx2 v[56:57], v29, s[2:3] offset:2040
	;; [unrolled: 1-line block ×3, first 2 shown]
	v_accvgpr_read_b32 v34, a211
	global_load_dwordx2 v[60:61], v34, s[2:3]
	global_load_dwordx2 v[64:65], v29, s[2:3] offset:3400
	ds_read2_b64 v[38:41], v114 offset0:68 offset1:85
	s_mov_b32 s12, 0xbeae86e6
	s_mov_b32 s13, 0x3f08b237
	;; [unrolled: 1-line block ×6, first 2 shown]
	v_accvgpr_write_b32 a240, v91
	v_accvgpr_write_b32 a68, v89
	;; [unrolled: 1-line block ×16, first 2 shown]
	v_mov_b32_e32 v75, v74
	v_accvgpr_write_b32 a210, v130
	v_accvgpr_write_b32 a209, v129
	;; [unrolled: 1-line block ×4, first 2 shown]
	v_accvgpr_mov_b32 a34, a198
	v_accvgpr_mov_b32 a35, a198
	v_accvgpr_write_b32 a236, v156
	v_accvgpr_write_b32 a238, v158
	;; [unrolled: 1-line block ×27, first 2 shown]
	s_waitcnt vmcnt(19) lgkmcnt(1)
	v_mul_f32_e32 v34, v31, v5
	v_fma_f32 v62, v30, v4, -v34
	v_mul_f32_e32 v63, v30, v5
	ds_read2_b64 v[34:37], v114 offset0:170 offset1:187
	v_fmac_f32_e32 v63, v31, v4
	global_load_dwordx2 v[30:31], v29, s[2:3] offset:1088
	global_load_dwordx2 v[66:67], v29, s[2:3] offset:1224
	ds_read2_b64 v[42:45], v54 offset0:84 offset1:101
	v_accvgpr_write_b32 a198, v110
	s_waitcnt vmcnt(20) lgkmcnt(1)
	v_mul_f32_e32 v4, v35, v7
	v_fma_f32 v68, v34, v6, -v4
	v_mul_f32_e32 v69, v34, v7
	s_waitcnt vmcnt(19) lgkmcnt(0)
	v_mul_f32_e32 v4, v43, v9
	v_mul_f32_e32 v71, v42, v9
	v_fma_f32 v70, v42, v8, -v4
	v_fmac_f32_e32 v71, v43, v8
	s_waitcnt vmcnt(18)
	v_mul_f32_e32 v8, v33, v11
	v_fmac_f32_e32 v69, v35, v6
	ds_read2_b64 v[4:7], v1 offset0:126 offset1:143
	v_fma_f32 v42, v32, v10, -v8
	v_mul_f32_e32 v43, v32, v11
	s_waitcnt vmcnt(17)
	v_mul_f32_e32 v8, v37, v17
	global_load_dwordx2 v[34:35], v29, s[2:3] offset:2992
	v_fmac_f32_e32 v43, v33, v10
	global_load_dwordx2 v[32:33], v29, s[2:3] offset:1632
	global_load_dwordx2 v[72:73], v29, s[2:3] offset:1768
	v_fma_f32 v76, v36, v16, -v8
	ds_read2_b64 v[8:11], v114 offset0:102 offset1:119
	v_mul_f32_e32 v77, v36, v17
	v_fmac_f32_e32 v77, v37, v16
	s_waitcnt vmcnt(19) lgkmcnt(1)
	v_mul_f32_e32 v16, v5, v15
	v_fma_f32 v16, v4, v14, -v16
	v_mul_f32_e32 v17, v4, v15
	s_waitcnt vmcnt(18) lgkmcnt(0)
	v_mul_f32_e32 v4, v9, v13
	v_fma_f32 v36, v8, v12, -v4
	v_mul_f32_e32 v37, v8, v13
	s_waitcnt vmcnt(17)
	v_mul_f32_e32 v4, v45, v19
	v_fmac_f32_e32 v37, v9, v12
	v_fma_f32 v12, v44, v18, -v4
	s_waitcnt vmcnt(16)
	v_mul_f32_e32 v4, v7, v21
	v_mul_f32_e32 v15, v6, v21
	v_fmac_f32_e32 v17, v5, v14
	v_fma_f32 v14, v6, v20, -v4
	v_fmac_f32_e32 v15, v7, v20
	ds_read2_b64 v[4:7], v54 offset0:16 offset1:33
	v_mul_f32_e32 v13, v44, v19
	s_waitcnt vmcnt(15)
	v_mul_f32_e32 v8, v11, v27
	v_fmac_f32_e32 v13, v45, v18
	v_fma_f32 v18, v10, v26, -v8
	v_mul_f32_e32 v19, v10, v27
	s_waitcnt vmcnt(14) lgkmcnt(0)
	v_mul_f32_e32 v8, v5, v25
	v_fmac_f32_e32 v19, v11, v26
	v_fma_f32 v20, v4, v24, -v8
	ds_read2_b64 v[8:11], v54 offset0:186 offset1:203
	v_mul_f32_e32 v21, v4, v25
	s_waitcnt vmcnt(13)
	v_mul_f32_e32 v4, v7, v23
	v_fmac_f32_e32 v21, v5, v24
	v_fma_f32 v24, v6, v22, -v4
	v_mul_f32_e32 v25, v6, v23
	s_waitcnt vmcnt(12) lgkmcnt(0)
	v_mul_f32_e32 v4, v9, v47
	v_fmac_f32_e32 v25, v7, v22
	v_fma_f32 v22, v8, v46, -v4
	ds_read2_b64 v[4:7], v114 offset0:34 offset1:51
	global_load_dwordx2 v[26:27], v29, s[2:3] offset:2448
	global_load_dwordx2 v[44:45], v29, s[2:3] offset:3128
	v_mul_f32_e32 v23, v8, v47
	s_waitcnt vmcnt(13)
	v_mul_f32_e32 v8, v11, v49
	v_fmac_f32_e32 v23, v9, v46
	v_fma_f32 v46, v10, v48, -v8
	s_waitcnt vmcnt(12) lgkmcnt(0)
	v_mul_f32_e32 v8, v5, v51
	v_mul_f32_e32 v47, v10, v49
	v_fma_f32 v84, v4, v50, -v8
	v_mul_f32_e32 v85, v4, v51
	s_waitcnt vmcnt(9)
	v_mul_f32_e32 v4, v7, v59
	v_mul_f32_e32 v51, v6, v59
	v_fmac_f32_e32 v47, v11, v48
	global_load_dwordx2 v[48:49], v[2:3], off offset:392
	global_load_dwordx2 v[82:83], v29, s[2:3] offset:3808
	v_fmac_f32_e32 v85, v5, v50
	v_fma_f32 v50, v6, v58, -v4
	v_fmac_f32_e32 v51, v7, v58
	ds_read2_b64 v[4:7], v114 offset0:238 offset1:255
	global_load_dwordx2 v[58:59], v29, s[2:3] offset:544
	ds_write2_b64 v114, v[62:63], v[42:43] offset1:17
	global_load_dwordx2 v[42:43], v29, s[2:3] offset:1904
	v_mul_f32_e32 v8, v41, v53
	v_mul_f32_e32 v63, v40, v53
	v_fma_f32 v62, v40, v52, -v8
	v_fmac_f32_e32 v63, v41, v52
	s_waitcnt lgkmcnt(1)
	v_mul_f32_e32 v8, v7, v57
	v_mul_f32_e32 v41, v6, v57
	v_fma_f32 v40, v6, v56, -v8
	v_fmac_f32_e32 v41, v7, v56
	global_load_dwordx2 v[6:7], v29, s[2:3] offset:2584
	global_load_dwordx2 v[52:53], v29, s[2:3] offset:3264
	ds_read2_b64 v[8:11], v54 offset0:152 offset1:169
	ds_write2_b64 v54, v[70:71], v[12:13] offset0:84 offset1:101
	global_load_dwordx2 v[2:3], v[2:3], off offset:528
	ds_write2_b64 v1, v[16:17], v[14:15] offset0:126 offset1:143
	ds_write2_b64 v114, v[36:37], v[18:19] offset0:102 offset1:119
	s_waitcnt vmcnt(14) lgkmcnt(3)
	v_mul_f32_e32 v12, v11, v65
	v_mul_f32_e32 v57, v10, v65
	v_fma_f32 v56, v10, v64, -v12
	v_fmac_f32_e32 v57, v11, v64
	global_load_dwordx2 v[64:65], v29, s[2:3] offset:3944
	ds_read2_b64 v[12:15], v114 offset0:204 offset1:221
	ds_write2_b64 v54, v[20:21], v[24:25] offset0:16 offset1:33
	ds_write2_b64 v54, v[22:23], v[46:47] offset0:186 offset1:203
	ds_read2_b64 v[20:23], v114 offset0:136 offset1:153
	ds_write2_b64 v114, v[68:69], v[76:77] offset0:170 offset1:187
	s_waitcnt vmcnt(11) lgkmcnt(4)
	v_mul_f32_e32 v10, v13, v33
	v_mul_f32_e32 v37, v12, v33
	v_fma_f32 v36, v12, v32, -v10
	v_fmac_f32_e32 v37, v13, v32
	ds_read2_b64 v[10:13], v54 offset0:118 offset1:135
	s_waitcnt vmcnt(10)
	v_mul_f32_e32 v25, v14, v73
	v_fmac_f32_e32 v25, v15, v72
	s_waitcnt lgkmcnt(2)
	v_mul_f32_e32 v29, v21, v31
	ds_write2_b64 v114, v[84:85], v[50:51] offset0:34 offset1:51
	s_waitcnt lgkmcnt(1)
	v_mul_f32_e32 v16, v11, v35
	v_fma_f32 v32, v10, v34, -v16
	ds_read2_b64 v[16:19], v55 offset0:32 offset1:49
	v_mul_f32_e32 v33, v10, v35
	v_fmac_f32_e32 v33, v11, v34
	v_mul_f32_e32 v35, v20, v31
	v_fma_f32 v34, v20, v30, -v29
	s_waitcnt lgkmcnt(0)
	v_mul_f32_e32 v10, v17, v61
	v_fma_f32 v10, v16, v60, -v10
	v_mul_f32_e32 v11, v16, v61
	v_mul_f32_e32 v16, v15, v73
	v_fmac_f32_e32 v11, v17, v60
	v_fma_f32 v24, v14, v72, -v16
	ds_read2_b64 v[14:17], v54 offset0:50 offset1:67
	v_fmac_f32_e32 v35, v21, v30
	ds_write2_b64 v114, v[36:37], v[24:25] offset0:204 offset1:221
	s_mov_b32 s2, 0x3d64c772
	s_mov_b32 s3, 0x3f4a47b2
	;; [unrolled: 1-line block ×4, first 2 shown]
	v_accvgpr_read_b32 v29, a33
	v_accvgpr_read_b32 v68, a188
	;; [unrolled: 1-line block ×3, first 2 shown]
	v_accvgpr_write_b32 a188, v104
	v_accvgpr_write_b32 a66, v109
	s_waitcnt vmcnt(9) lgkmcnt(1)
	v_mul_f32_e32 v20, v15, v27
	v_mul_f32_e32 v21, v14, v27
	v_fma_f32 v20, v14, v26, -v20
	v_fmac_f32_e32 v21, v15, v26
	s_waitcnt vmcnt(8)
	v_mul_f32_e32 v14, v13, v45
	v_mul_f32_e32 v15, v12, v45
	v_fma_f32 v14, v12, v44, -v14
	v_fmac_f32_e32 v15, v13, v44
	ds_write2_b64 v54, v[32:33], v[14:15] offset0:118 offset1:135
	ds_read2_b64 v[24:27], v54 offset0:220 offset1:237
	v_accvgpr_write_b32 a176, v92
	v_accvgpr_write_b32 a178, v94
	s_waitcnt vmcnt(7)
	v_mul_f32_e32 v14, v19, v49
	v_mul_f32_e32 v15, v18, v49
	v_fma_f32 v14, v18, v48, -v14
	v_fmac_f32_e32 v15, v19, v48
	ds_write2_b64 v55, v[10:11], v[14:15] offset0:32 offset1:49
	s_waitcnt vmcnt(6) lgkmcnt(1)
	v_mul_f32_e32 v12, v25, v83
	s_waitcnt vmcnt(5)
	v_mul_f32_e32 v10, v39, v59
	v_mul_f32_e32 v11, v38, v59
	v_fma_f32 v10, v38, v58, -v10
	v_fmac_f32_e32 v11, v39, v58
	ds_write2_b64 v114, v[10:11], v[62:63] offset0:68 offset1:85
	v_mul_f32_e32 v10, v23, v67
	v_mul_f32_e32 v11, v22, v67
	v_fma_f32 v10, v22, v66, -v10
	v_fmac_f32_e32 v11, v23, v66
	ds_write2_b64 v114, v[34:35], v[10:11] offset0:136 offset1:153
	s_waitcnt vmcnt(4)
	v_mul_f32_e32 v10, v5, v43
	v_mul_f32_e32 v11, v4, v43
	v_fma_f32 v10, v4, v42, -v10
	v_fmac_f32_e32 v11, v5, v42
	s_waitcnt vmcnt(3)
	v_mul_f32_e32 v4, v17, v7
	v_mul_f32_e32 v5, v16, v7
	v_fma_f32 v4, v16, v6, -v4
	v_fmac_f32_e32 v5, v17, v6
	ds_write2_b64 v54, v[20:21], v[4:5] offset0:50 offset1:67
	s_waitcnt vmcnt(2)
	v_mul_f32_e32 v4, v9, v53
	v_mul_f32_e32 v5, v8, v53
	v_fma_f32 v4, v8, v52, -v4
	v_fmac_f32_e32 v5, v9, v52
	ds_write2_b64 v54, v[4:5], v[56:57] offset0:152 offset1:169
	ds_read_b64 v[4:5], v114 offset:4624
	v_mul_f32_e32 v13, v24, v83
	s_waitcnt vmcnt(0)
	v_mul_f32_e32 v6, v27, v65
	v_mul_f32_e32 v7, v26, v65
	v_fma_f32 v12, v24, v82, -v12
	v_fmac_f32_e32 v13, v25, v82
	v_fma_f32 v6, v26, v64, -v6
	v_fmac_f32_e32 v7, v27, v64
	ds_write2_b64 v54, v[12:13], v[6:7] offset0:220 offset1:237
	s_waitcnt lgkmcnt(1)
	v_mul_f32_e32 v6, v5, v3
	v_mul_f32_e32 v7, v4, v3
	v_fma_f32 v6, v4, v2, -v6
	v_fmac_f32_e32 v7, v5, v2
	ds_write2_b64 v114, v[10:11], v[40:41] offset0:238 offset1:255
	ds_write_b64 v114, v[6:7] offset:4624
	s_waitcnt lgkmcnt(0)
	; wave barrier
	s_waitcnt lgkmcnt(0)
	ds_read2_b64 v[210:213], v114 offset1:17
	ds_read2_b64 v[200:203], v114 offset0:102 offset1:119
	ds_read2_b64 v[216:219], v114 offset0:170 offset1:187
	;; [unrolled: 1-line block ×9, first 2 shown]
	v_accvgpr_read_b32 v1, a189
	ds_read2_b64 v[230:233], v114 offset0:34 offset1:51
	v_accvgpr_read_b32 v58, a168
	s_waitcnt lgkmcnt(3)
	v_pk_add_f32 v[8:9], v[194:195], v[226:227]
	s_waitcnt lgkmcnt(2)
	v_pk_add_f32 v[10:11], v[216:217], v[186:187]
	;; [unrolled: 2-line block ×3, first 2 shown]
	v_pk_add_f32 v[4:5], v[10:11], v[8:9]
	v_pk_add_f32 v[14:15], v[194:195], v[226:227] neg_lo:[0,1] neg_hi:[0,1]
	v_pk_add_f32 v[16:17], v[216:217], v[186:187] neg_lo:[0,1] neg_hi:[0,1]
	;; [unrolled: 1-line block ×3, first 2 shown]
	v_mov_b32_e32 v18, v2
	v_mov_b32_e32 v19, v9
	;; [unrolled: 1-line block ×4, first 2 shown]
	v_pk_add_f32 v[4:5], v[2:3], v[4:5]
	v_pk_add_f32 v[18:19], v[18:19], v[20:21] neg_lo:[0,1] neg_hi:[0,1]
	v_mov_b32_e32 v20, v8
	v_mov_b32_e32 v3, v11
	;; [unrolled: 1-line block ×6, first 2 shown]
	v_pk_add_f32 v[20:21], v[20:21], v[2:3] neg_lo:[0,1] neg_hi:[0,1]
	v_pk_add_f32 v[2:3], v[6:7], v[16:17]
	v_pk_add_f32 v[22:23], v[22:23], v[24:25] neg_lo:[0,1] neg_hi:[0,1]
	v_mov_b32_e32 v24, v15
	v_mov_b32_e32 v6, v7
	;; [unrolled: 1-line block ×3, first 2 shown]
	v_pk_add_f32 v[12:13], v[210:211], v[4:5]
	v_pk_add_f32 v[24:25], v[24:25], v[6:7] neg_lo:[0,1] neg_hi:[0,1]
	v_pk_add_f32 v[26:27], v[2:3], v[14:15]
	v_pk_mul_f32 v[18:19], v[18:19], s[2:3]
	v_pk_mul_f32 v[22:23], v[22:23], s[16:17]
	v_pk_mul_f32 v[2:3], v[26:27], s[0:1] op_sel_hi:[1,0]
	v_pk_fma_f32 v[30:31], v[4:5], s[8:9], v[12:13] op_sel_hi:[1,0,1] neg_lo:[1,0,0] neg_hi:[1,0,0]
	v_pk_fma_f32 v[4:5], v[20:21], s[14:15], v[18:19]
	v_pk_fma_f32 v[6:7], v[24:25], s[12:13], v[22:23]
	v_pk_add_f32 v[4:5], v[4:5], v[30:31]
	v_pk_add_f32 v[2:3], v[2:3], v[6:7] op_sel:[1,0] op_sel_hi:[0,1]
	v_pk_add_f32 v[6:7], v[4:5], v[2:3]
	v_pk_add_f32 v[4:5], v[4:5], v[2:3] neg_lo:[0,1] neg_hi:[0,1]
	v_mov_b32_e32 v32, v6
	v_mov_b32_e32 v33, v5
	ds_read_b64 v[2:3], v114 offset:4624
	ds_read2_b64 v[234:237], v114 offset0:204 offset1:221
	ds_read2_b64 v[238:241], v54 offset0:118 offset1:135
	;; [unrolled: 1-line block ×6, first 2 shown]
	s_waitcnt lgkmcnt(0)
	; wave barrier
	s_waitcnt lgkmcnt(0)
	ds_write2_b64 v1, v[12:13], v[32:33] offset1:1
	v_pk_add_f32 v[8:9], v[10:11], v[8:9] neg_lo:[0,1] neg_hi:[0,1]
	v_pk_add_f32 v[10:11], v[16:17], v[14:15] neg_lo:[0,1] neg_hi:[0,1]
	v_pk_mul_f32 v[12:13], v[20:21], s[14:15]
	v_pk_mul_f32 v[14:15], v[24:25], s[12:13]
	v_mov_b32_e32 v16, v12
	v_mov_b32_e32 v17, v19
	v_mov_b32_e32 v20, v23
	v_mov_b32_e32 v21, v14
	v_mov_b32_e32 v19, v13
	v_mov_b32_e32 v12, v15
	v_mov_b32_e32 v13, v22
	v_pk_fma_f32 v[16:17], v[8:9], s[20:21], v[16:17] op_sel_hi:[1,0,1] neg_lo:[1,0,1] neg_hi:[1,0,1]
	v_pk_fma_f32 v[20:21], v[10:11], s[18:19], v[20:21] op_sel_hi:[1,0,1] neg_lo:[1,0,1] neg_hi:[1,0,1]
	;; [unrolled: 1-line block ×4, first 2 shown]
	v_pk_add_f32 v[16:17], v[16:17], v[30:31]
	v_pk_fma_f32 v[20:21], v[26:27], s[0:1], v[20:21] op_sel_hi:[1,0,1]
	v_pk_add_f32 v[8:9], v[8:9], v[30:31]
	v_pk_fma_f32 v[10:11], v[26:27], s[0:1], v[10:11] op_sel_hi:[1,0,1]
	v_pk_add_f32 v[24:25], v[16:17], v[20:21] op_sel:[0,1] op_sel_hi:[1,0]
	v_pk_add_f32 v[16:17], v[16:17], v[20:21] op_sel:[0,1] op_sel_hi:[1,0] neg_lo:[0,1] neg_hi:[0,1]
	v_pk_add_f32 v[12:13], v[8:9], v[10:11] op_sel:[0,1] op_sel_hi:[1,0] neg_lo:[0,1] neg_hi:[0,1]
	v_pk_add_f32 v[8:9], v[8:9], v[10:11] op_sel:[0,1] op_sel_hi:[1,0]
	v_mov_b32_e32 v10, v24
	v_mov_b32_e32 v11, v17
	;; [unrolled: 1-line block ×6, first 2 shown]
	ds_write2_b64 v1, v[10:11], v[14:15] offset0:2 offset1:3
	ds_write2_b64 v1, v[8:9], v[16:17] offset0:4 offset1:5
	v_pk_add_f32 v[8:9], v[200:201], v[228:229]
	v_pk_add_f32 v[10:11], v[218:219], v[204:205]
	;; [unrolled: 1-line block ×4, first 2 shown]
	v_mov_b32_e32 v24, v12
	v_mov_b32_e32 v25, v9
	;; [unrolled: 1-line block ×4, first 2 shown]
	v_pk_add_f32 v[14:15], v[12:13], v[14:15]
	v_pk_add_f32 v[18:19], v[200:201], v[228:229] neg_lo:[0,1] neg_hi:[0,1]
	v_pk_add_f32 v[20:21], v[218:219], v[204:205] neg_lo:[0,1] neg_hi:[0,1]
	;; [unrolled: 1-line block ×4, first 2 shown]
	v_mov_b32_e32 v26, v8
	v_mov_b32_e32 v13, v11
	v_pk_add_f32 v[12:13], v[26:27], v[12:13] neg_lo:[0,1] neg_hi:[0,1]
	v_mov_b32_e32 v26, v23
	v_mov_b32_e32 v27, v18
	v_mov_b32_e32 v30, v21
	v_mov_b32_e32 v31, v22
	v_pk_add_f32 v[26:27], v[26:27], v[30:31] neg_lo:[0,1] neg_hi:[0,1]
	v_mov_b32_e32 v30, v19
	v_mov_b32_e32 v32, v23
	;; [unrolled: 1-line block ×3, first 2 shown]
	v_pk_add_f32 v[22:23], v[22:23], v[20:21]
	v_pk_add_f32 v[30:31], v[30:31], v[32:33] neg_lo:[0,1] neg_hi:[0,1]
	v_pk_add_f32 v[22:23], v[22:23], v[18:19]
	v_pk_mul_f32 v[26:27], v[26:27], s[16:17]
	v_pk_mul_f32 v[32:33], v[22:23], s[0:1] op_sel_hi:[1,0]
	v_pk_fma_f32 v[34:35], v[30:31], s[12:13], v[26:27]
	v_pk_mul_f32 v[24:25], v[24:25], s[2:3]
	v_pk_add_f32 v[32:33], v[32:33], v[34:35] op_sel:[1,0] op_sel_hi:[0,1]
	v_pk_fma_f32 v[34:35], v[12:13], s[14:15], v[24:25]
	v_pk_add_f32 v[8:9], v[10:11], v[8:9] neg_lo:[0,1] neg_hi:[0,1]
	v_pk_add_f32 v[10:11], v[20:21], v[18:19] neg_lo:[0,1] neg_hi:[0,1]
	v_pk_mul_f32 v[12:13], v[12:13], s[14:15]
	v_pk_mul_f32 v[18:19], v[30:31], s[12:13]
	v_pk_add_f32 v[16:17], v[212:213], v[14:15]
	v_mov_b32_e32 v20, v12
	v_mov_b32_e32 v21, v25
	;; [unrolled: 1-line block ×7, first 2 shown]
	v_pk_fma_f32 v[14:15], v[14:15], s[8:9], v[16:17] op_sel_hi:[1,0,1] neg_lo:[1,0,0] neg_hi:[1,0,0]
	v_pk_fma_f32 v[20:21], v[8:9], s[20:21], v[20:21] op_sel_hi:[1,0,1] neg_lo:[1,0,1] neg_hi:[1,0,1]
	;; [unrolled: 1-line block ×5, first 2 shown]
	v_pk_add_f32 v[8:9], v[8:9], v[14:15]
	v_pk_fma_f32 v[10:11], v[22:23], s[0:1], v[10:11] op_sel_hi:[1,0,1]
	v_pk_add_f32 v[34:35], v[34:35], v[14:15]
	v_pk_add_f32 v[20:21], v[20:21], v[14:15]
	v_pk_fma_f32 v[30:31], v[22:23], s[0:1], v[30:31] op_sel_hi:[1,0,1]
	v_pk_add_f32 v[12:13], v[8:9], v[10:11] op_sel:[0,1] op_sel_hi:[1,0] neg_lo:[0,1] neg_hi:[0,1]
	v_pk_add_f32 v[8:9], v[8:9], v[10:11] op_sel:[0,1] op_sel_hi:[1,0]
	v_pk_add_f32 v[10:11], v[202:203], v[242:243]
	v_pk_add_f32 v[18:19], v[234:235], v[206:207]
	;; [unrolled: 1-line block ×4, first 2 shown]
	v_pk_add_f32 v[32:33], v[34:35], v[32:33] neg_lo:[0,1] neg_hi:[0,1]
	v_pk_add_f32 v[34:35], v[20:21], v[30:31] op_sel:[0,1] op_sel_hi:[1,0]
	v_pk_add_f32 v[20:21], v[20:21], v[30:31] op_sel:[0,1] op_sel_hi:[1,0] neg_lo:[0,1] neg_hi:[0,1]
	v_mov_b32_e32 v30, v24
	v_mov_b32_e32 v31, v11
	;; [unrolled: 1-line block ×4, first 2 shown]
	v_pk_add_f32 v[30:31], v[30:31], v[38:39] neg_lo:[0,1] neg_hi:[0,1]
	v_pk_add_f32 v[38:39], v[18:19], v[10:11]
	v_pk_add_f32 v[14:15], v[202:203], v[242:243] neg_lo:[0,1] neg_hi:[0,1]
	v_pk_add_f32 v[22:23], v[234:235], v[206:207] neg_lo:[0,1] neg_hi:[0,1]
	;; [unrolled: 1-line block ×3, first 2 shown]
	v_pk_add_f32 v[38:39], v[24:25], v[38:39]
	v_mov_b32_e32 v40, v10
	v_mov_b32_e32 v41, v25
	;; [unrolled: 1-line block ×3, first 2 shown]
	v_pk_add_f32 v[24:25], v[40:41], v[24:25] neg_lo:[0,1] neg_hi:[0,1]
	v_mov_b32_e32 v40, v27
	v_mov_b32_e32 v41, v14
	;; [unrolled: 1-line block ×4, first 2 shown]
	v_pk_add_f32 v[40:41], v[40:41], v[42:43] neg_lo:[0,1] neg_hi:[0,1]
	v_mov_b32_e32 v42, v15
	v_mov_b32_e32 v44, v27
	;; [unrolled: 1-line block ×3, first 2 shown]
	v_pk_add_f32 v[26:27], v[26:27], v[22:23]
	v_pk_add_f32 v[42:43], v[42:43], v[44:45] neg_lo:[0,1] neg_hi:[0,1]
	v_pk_add_f32 v[26:27], v[26:27], v[14:15]
	v_pk_mul_f32 v[40:41], v[40:41], s[16:17]
	v_pk_mul_f32 v[44:45], v[26:27], s[0:1] op_sel_hi:[1,0]
	v_pk_fma_f32 v[46:47], v[42:43], s[12:13], v[40:41]
	v_pk_mul_f32 v[30:31], v[30:31], s[2:3]
	v_pk_add_f32 v[10:11], v[18:19], v[10:11] neg_lo:[0,1] neg_hi:[0,1]
	v_pk_add_f32 v[14:15], v[22:23], v[14:15] neg_lo:[0,1] neg_hi:[0,1]
	v_pk_mul_f32 v[18:19], v[24:25], s[14:15]
	v_pk_mul_f32 v[22:23], v[42:43], s[12:13]
	v_pk_add_f32 v[44:45], v[44:45], v[46:47] op_sel:[1,0] op_sel_hi:[0,1]
	v_pk_add_f32 v[46:47], v[230:231], v[38:39]
	v_pk_fma_f32 v[48:49], v[24:25], s[14:15], v[30:31]
	v_mov_b32_e32 v24, v18
	v_mov_b32_e32 v25, v31
	;; [unrolled: 1-line block ×7, first 2 shown]
	v_pk_fma_f32 v[38:39], v[38:39], s[8:9], v[46:47] op_sel_hi:[1,0,1] neg_lo:[1,0,0] neg_hi:[1,0,0]
	v_pk_fma_f32 v[24:25], v[10:11], s[20:21], v[24:25] op_sel_hi:[1,0,1] neg_lo:[1,0,1] neg_hi:[1,0,1]
	;; [unrolled: 1-line block ×5, first 2 shown]
	v_mov_b32_e32 v5, v7
	v_pk_add_f32 v[10:11], v[10:11], v[38:39]
	v_pk_fma_f32 v[14:15], v[26:27], s[0:1], v[14:15] op_sel_hi:[1,0,1]
	ds_write_b64 v1, v[4:5] offset:48
	v_mov_b32_e32 v4, v36
	v_mov_b32_e32 v5, v33
	v_pk_fma_f32 v[42:43], v[26:27], s[0:1], v[42:43] op_sel_hi:[1,0,1]
	v_pk_add_f32 v[18:19], v[10:11], v[14:15] op_sel:[0,1] op_sel_hi:[1,0] neg_lo:[0,1] neg_hi:[0,1]
	v_pk_add_f32 v[10:11], v[10:11], v[14:15] op_sel:[0,1] op_sel_hi:[1,0]
	v_pk_add_f32 v[14:15], v[214:215], v[244:245]
	v_pk_add_f32 v[22:23], v[236:237], v[224:225]
	;; [unrolled: 1-line block ×3, first 2 shown]
	ds_write2_b64 v29, v[16:17], v[4:5] offset1:1
	v_mov_b32_e32 v4, v34
	v_mov_b32_e32 v5, v21
	v_mov_b32_e32 v6, v12
	v_mov_b32_e32 v7, v9
	v_pk_add_f32 v[48:49], v[48:49], v[38:39]
	v_pk_add_f32 v[24:25], v[24:25], v[38:39]
	;; [unrolled: 1-line block ×3, first 2 shown]
	ds_write2_b64 v29, v[4:5], v[6:7] offset0:2 offset1:3
	v_mov_b32_e32 v4, v26
	v_mov_b32_e32 v5, v15
	;; [unrolled: 1-line block ×4, first 2 shown]
	v_pk_add_f32 v[50:51], v[48:49], v[44:45]
	v_pk_add_f32 v[44:45], v[48:49], v[44:45] neg_lo:[0,1] neg_hi:[0,1]
	v_pk_add_f32 v[48:49], v[24:25], v[42:43] op_sel:[0,1] op_sel_hi:[1,0]
	v_pk_add_f32 v[24:25], v[24:25], v[42:43] op_sel:[0,1] op_sel_hi:[1,0] neg_lo:[0,1] neg_hi:[0,1]
	v_pk_add_f32 v[30:31], v[26:27], v[30:31]
	v_pk_add_f32 v[40:41], v[214:215], v[244:245] neg_lo:[0,1] neg_hi:[0,1]
	v_pk_add_f32 v[42:43], v[236:237], v[224:225] neg_lo:[0,1] neg_hi:[0,1]
	v_pk_add_f32 v[52:53], v[240:241], v[208:209] neg_lo:[0,1] neg_hi:[0,1]
	v_pk_add_f32 v[4:5], v[4:5], v[6:7] neg_lo:[0,1] neg_hi:[0,1]
	v_mov_b32_e32 v6, v14
	v_mov_b32_e32 v27, v23
	v_pk_add_f32 v[6:7], v[6:7], v[26:27] neg_lo:[0,1] neg_hi:[0,1]
	v_mov_b32_e32 v16, v53
	v_mov_b32_e32 v17, v40
	v_mov_b32_e32 v26, v43
	v_mov_b32_e32 v27, v52
	v_pk_add_f32 v[16:17], v[16:17], v[26:27] neg_lo:[0,1] neg_hi:[0,1]
	v_mov_b32_e32 v26, v41
	v_mov_b32_e32 v56, v53
	;; [unrolled: 1-line block ×4, first 2 shown]
	v_pk_add_f32 v[12:13], v[52:53], v[42:43]
	v_pk_add_f32 v[38:39], v[232:233], v[30:31]
	v_pk_add_f32 v[26:27], v[26:27], v[56:57] neg_lo:[0,1] neg_hi:[0,1]
	v_pk_add_f32 v[12:13], v[12:13], v[40:41]
	v_pk_mul_f32 v[4:5], v[4:5], s[2:3]
	v_mov_b32_e32 v21, v35
	v_pk_mul_f32 v[16:17], v[16:17], s[16:17]
	v_mov_b32_e32 v33, v37
	v_pk_mul_f32 v[34:35], v[12:13], s[0:1] op_sel_hi:[1,0]
	v_pk_fma_f32 v[30:31], v[30:31], s[8:9], v[38:39] op_sel_hi:[1,0,1] neg_lo:[1,0,0] neg_hi:[1,0,0]
	ds_write2_b64 v29, v[8:9], v[20:21] offset0:4 offset1:5
	v_pk_fma_f32 v[8:9], v[6:7], s[14:15], v[4:5]
	v_pk_fma_f32 v[20:21], v[26:27], s[12:13], v[16:17]
	ds_write_b64 v29, v[32:33] offset:48
	v_mov_b32_e32 v32, v50
	v_mov_b32_e32 v33, v45
	v_accvgpr_read_b32 v29, a187
	v_pk_add_f32 v[8:9], v[8:9], v[30:31]
	v_pk_add_f32 v[20:21], v[34:35], v[20:21] op_sel:[1,0] op_sel_hi:[0,1]
	v_pk_add_f32 v[14:15], v[22:23], v[14:15] neg_lo:[0,1] neg_hi:[0,1]
	v_pk_mul_f32 v[6:7], v[6:7], s[14:15]
	v_pk_mul_f32 v[22:23], v[26:27], s[12:13]
	ds_write2_b64 v29, v[46:47], v[32:33] offset1:1
	v_mov_b32_e32 v32, v48
	v_mov_b32_e32 v33, v25
	;; [unrolled: 1-line block ×4, first 2 shown]
	v_pk_add_f32 v[34:35], v[8:9], v[20:21]
	v_pk_add_f32 v[8:9], v[8:9], v[20:21] neg_lo:[0,1] neg_hi:[0,1]
	v_pk_add_f32 v[20:21], v[42:43], v[40:41] neg_lo:[0,1] neg_hi:[0,1]
	v_mov_b32_e32 v26, v6
	v_mov_b32_e32 v27, v5
	ds_write2_b64 v29, v[32:33], v[36:37] offset0:2 offset1:3
	v_mov_b32_e32 v32, v17
	v_mov_b32_e32 v33, v22
	v_mov_b32_e32 v5, v7
	v_mov_b32_e32 v6, v23
	v_mov_b32_e32 v7, v16
	v_pk_fma_f32 v[26:27], v[14:15], s[20:21], v[26:27] op_sel_hi:[1,0,1] neg_lo:[1,0,1] neg_hi:[1,0,1]
	v_pk_fma_f32 v[32:33], v[20:21], s[18:19], v[32:33] op_sel_hi:[1,0,1] neg_lo:[1,0,1] neg_hi:[1,0,1]
	;; [unrolled: 1-line block ×4, first 2 shown]
	v_pk_add_f32 v[26:27], v[26:27], v[30:31]
	v_pk_fma_f32 v[32:33], v[12:13], s[0:1], v[32:33] op_sel_hi:[1,0,1]
	v_pk_add_f32 v[4:5], v[4:5], v[30:31]
	v_pk_fma_f32 v[6:7], v[12:13], s[0:1], v[6:7] op_sel_hi:[1,0,1]
	v_pk_add_f32 v[36:37], v[26:27], v[32:33] op_sel:[0,1] op_sel_hi:[1,0]
	v_pk_add_f32 v[26:27], v[26:27], v[32:33] op_sel:[0,1] op_sel_hi:[1,0] neg_lo:[0,1] neg_hi:[0,1]
	v_pk_add_f32 v[12:13], v[4:5], v[6:7] op_sel:[0,1] op_sel_hi:[1,0] neg_lo:[0,1] neg_hi:[0,1]
	v_pk_add_f32 v[4:5], v[4:5], v[6:7] op_sel:[0,1] op_sel_hi:[1,0]
	v_mov_b32_e32 v11, v19
	v_mov_b32_e32 v25, v49
	;; [unrolled: 1-line block ×5, first 2 shown]
	v_accvgpr_read_b32 v20, a183
	ds_write2_b64 v29, v[10:11], v[24:25] offset0:4 offset1:5
	v_pk_add_f32 v[6:7], v[216:217], v[2:3]
	v_pk_add_f32 v[10:11], v[188:189], v[226:227]
	ds_write_b64 v29, v[44:45] offset:48
	ds_write2_b64 v20, v[38:39], v[14:15] offset1:1
	v_mov_b32_e32 v14, v36
	v_mov_b32_e32 v15, v27
	;; [unrolled: 1-line block ×4, first 2 shown]
	ds_write2_b64 v20, v[14:15], v[16:17] offset0:2 offset1:3
	v_pk_add_f32 v[14:15], v[210:211], v[184:185]
	v_pk_add_f32 v[16:17], v[10:11], v[6:7]
	;; [unrolled: 1-line block ×3, first 2 shown]
	v_mov_b32_e32 v5, v13
	v_mov_b32_e32 v27, v37
	;; [unrolled: 1-line block ×3, first 2 shown]
	v_pk_add_f32 v[18:19], v[192:193], v[16:17]
	ds_write2_b64 v20, v[4:5], v[26:27] offset0:4 offset1:5
	ds_write_b64 v20, v[8:9] offset:48
	v_pk_add_f32 v[2:3], v[216:217], v[2:3] neg_lo:[0,1] neg_hi:[0,1]
	v_pk_add_f32 v[4:5], v[188:189], v[226:227] neg_lo:[0,1] neg_hi:[0,1]
	;; [unrolled: 1-line block ×5, first 2 shown]
	v_pk_add_f32 v[20:21], v[8:9], v[4:5]
	v_pk_add_f32 v[22:23], v[2:3], v[8:9] neg_lo:[0,1] neg_hi:[0,1]
	v_pk_add_f32 v[24:25], v[4:5], v[2:3] neg_lo:[0,1] neg_hi:[0,1]
	v_pk_fma_f32 v[16:17], v[16:17], s[8:9], v[18:19] op_sel_hi:[1,0,1] neg_lo:[1,0,0] neg_hi:[1,0,0]
	v_pk_add_f32 v[10:11], v[14:15], v[10:11] neg_lo:[0,1] neg_hi:[0,1]
	v_pk_add_f32 v[4:5], v[8:9], v[4:5] neg_lo:[0,1] neg_hi:[0,1]
	s_mov_b32 s8, s13
	v_pk_add_f32 v[2:3], v[20:21], v[2:3]
	v_pk_mul_f32 v[6:7], v[6:7], s[14:15] op_sel_hi:[1,0]
	v_pk_mul_f32 v[20:21], v[12:13], s[20:21] op_sel_hi:[1,0]
	;; [unrolled: 1-line block ×6, first 2 shown]
	v_pk_add_f32 v[20:21], v[6:7], v[20:21] op_sel:[1,1] op_sel_hi:[0,0] neg_lo:[1,1] neg_hi:[1,1]
	v_pk_fma_f32 v[6:7], v[10:11], s[2:3], v[6:7] op_sel_hi:[1,0,1]
	v_pk_fma_f32 v[10:11], v[12:13], s[20:21], v[14:15] op_sel_hi:[1,0,1] neg_lo:[0,0,1] neg_hi:[0,0,1]
	v_pk_fma_f32 v[4:5], v[4:5], s[8:9], v[26:27] op_sel_hi:[1,0,1]
	v_pk_fma_f32 v[8:9], v[24:25], s[18:19], v[8:9] op_sel_hi:[1,0,1] neg_lo:[0,0,1] neg_hi:[0,0,1]
	v_pk_fma_f32 v[22:23], v[22:23], s[12:13], v[30:31] op_sel_hi:[1,0,1] neg_lo:[1,0,1] neg_hi:[1,0,1]
	v_pk_add_f32 v[10:11], v[10:11], v[16:17]
	v_pk_fma_f32 v[8:9], v[2:3], s[0:1], v[8:9] op_sel_hi:[1,0,1]
	v_pk_add_f32 v[6:7], v[6:7], v[16:17]
	v_pk_fma_f32 v[4:5], v[2:3], s[0:1], v[4:5] op_sel_hi:[1,0,1]
	v_pk_add_f32 v[20:21], v[20:21], v[16:17] op_sel:[0,1] op_sel_hi:[1,0]
	v_pk_fma_f32 v[22:23], v[2:3], s[0:1], v[22:23] op_sel_hi:[1,0,1]
	v_pk_add_f32 v[12:13], v[10:11], v[8:9] op_sel:[0,1] op_sel_hi:[1,0] neg_lo:[0,1] neg_hi:[0,1]
	v_pk_add_f32 v[8:9], v[10:11], v[8:9] op_sel:[0,1] op_sel_hi:[1,0]
	v_pk_add_f32 v[10:11], v[6:7], v[4:5] op_sel:[0,1] op_sel_hi:[1,0] neg_lo:[0,1] neg_hi:[0,1]
	v_pk_add_f32 v[2:3], v[6:7], v[4:5] op_sel:[0,1] op_sel_hi:[1,0]
	v_pk_add_f32 v[30:31], v[20:21], v[22:23]
	v_pk_add_f32 v[20:21], v[20:21], v[22:23] neg_lo:[0,1] neg_hi:[0,1]
	v_mov_b32_e32 v4, v2
	v_mov_b32_e32 v5, v11
	v_accvgpr_read_b32 v2, a185
	ds_write2_b64 v2, v[18:19], v[4:5] offset1:1
	v_mov_b32_e32 v4, v31
	v_mov_b32_e32 v5, v20
	;; [unrolled: 1-line block ×4, first 2 shown]
	ds_write2_b64 v2, v[4:5], v[6:7] offset0:2 offset1:3
	v_mov_b32_e32 v9, v13
	v_mov_b32_e32 v4, v21
	;; [unrolled: 1-line block ×4, first 2 shown]
	v_accvgpr_read_b32 v59, a169
	v_accvgpr_read_b32 v60, a170
	v_accvgpr_write_b32 a168, v88
	v_accvgpr_write_b32 a170, v90
	ds_write2_b64 v2, v[8:9], v[4:5] offset0:4 offset1:5
	ds_write_b64 v2, v[10:11] offset:48
	s_waitcnt lgkmcnt(0)
	; wave barrier
	s_waitcnt lgkmcnt(0)
	ds_read2_b64 v[76:79], v114 offset0:35 offset1:52
	ds_read2_b64 v[70:73], v114 offset0:70 offset1:87
	;; [unrolled: 1-line block ×13, first 2 shown]
	ds_read2_b64 v[184:187], v114 offset1:17
	ds_read2_b64 v[44:47], v114 offset0:140 offset1:157
	ds_read2_b64 v[88:91], v114 offset0:175 offset1:192
	;; [unrolled: 1-line block ×3, first 2 shown]
	v_mov_b32_e32 v61, v60
	v_accvgpr_read_b32 v56, a180
	v_accvgpr_read_b32 v57, a180
	v_mov_b32_e32 v1, v0
	v_accvgpr_read_b32 v62, a182
	v_accvgpr_read_b32 v63, a182
	;; [unrolled: 1-line block ×6, first 2 shown]
	v_accvgpr_write_b32 a16, v93
	v_accvgpr_write_b32 a184, v100
	;; [unrolled: 1-line block ×9, first 2 shown]
	s_and_saveexec_b64 s[0:1], vcc
	s_cbranch_execz .LBB0_7
; %bb.6:
	v_accvgpr_read_b32 v3, a19
	v_add_u32_e32 v2, 0x800, v3
	ds_read_b64 a[74:75], v114 offset:272
	ds_read2_b64 a[108:111], v3 offset0:69 offset1:104
	ds_read2_b64 a[124:127], v3 offset0:139 offset1:174
	;; [unrolled: 1-line block ×6, first 2 shown]
	v_add_u32_e32 v2, 0xc00, v3
	ds_read2_b64 a[136:139], v2 offset0:105 offset1:140
	v_add_u32_e32 v2, 0x1000, v3
	ds_read2_b64 a[112:115], v2 offset0:47 offset1:82
.LBB0_7:
	s_or_b64 exec, exec, s[0:1]
	s_waitcnt lgkmcnt(11)
	v_pk_mov_b32 v[8:9], v[6:7], v[6:7] op_sel:[0,1]
	v_pk_mov_b32 v[6:7], v[4:5], v[4:5] op_sel:[0,1]
	v_pk_mov_b32 v[12:13], v[8:9], v[8:9] op_sel:[0,1]
	v_accvgpr_write_b32 a39, v13
	s_waitcnt lgkmcnt(6)
	v_accvgpr_write_b32 a30, v40
	v_accvgpr_write_b32 a38, v12
	v_pk_mul_f32 v[12:13], v[62:63], v[232:233]
	v_accvgpr_write_b32 a31, v41
	v_accvgpr_read_b32 v40, a164
	v_pk_mul_f32 v[0:1], v[0:1], v[244:245]
	v_pk_fma_f32 v[16:17], v[172:173], v[232:233], v[12:13] op_sel:[0,0,1] op_sel_hi:[1,1,0]
	v_pk_fma_f32 v[12:13], v[172:173], v[232:233], v[12:13] op_sel:[0,0,1] op_sel_hi:[1,1,0] neg_lo:[0,0,1] neg_hi:[0,0,1]
	v_accvgpr_read_b32 v41, a165
	v_accvgpr_read_b32 v42, a166
	;; [unrolled: 1-line block ×3, first 2 shown]
	s_waitcnt lgkmcnt(4)
	v_pk_mov_b32 v[232:233], v[36:37], v[36:37] op_sel:[0,1]
	s_waitcnt lgkmcnt(2)
	v_accvgpr_write_b32 a165, v47
	v_pk_mul_f32 v[4:5], v[68:69], v[6:7]
	v_pk_mov_b32 v[10:11], v[6:7], v[6:7] op_sel:[0,1]
	v_pk_fma_f32 v[6:7], v[166:167], v[244:245], v[0:1] op_sel:[0,0,1] op_sel_hi:[1,1,0]
	v_pk_fma_f32 v[0:1], v[166:167], v[244:245], v[0:1] op_sel:[0,0,1] op_sel_hi:[1,1,0] neg_lo:[0,0,1] neg_hi:[0,0,1]
	v_pk_mov_b32 v[94:95], v[22:23], v[22:23] op_sel:[0,1]
	v_accvgpr_write_b32 a81, v27
	v_pk_mov_b32 v[244:245], v[30:31], v[30:31] op_sel:[0,1]
	v_pk_mov_b32 v[230:231], v[34:35], v[34:35] op_sel:[0,1]
	v_accvgpr_write_b32 a164, v46
	v_accvgpr_read_b32 v46, a172
	v_pk_mov_b32 v[92:93], v[20:21], v[20:21] op_sel:[0,1]
	v_accvgpr_write_b32 a80, v26
	v_pk_mul_f32 v[26:27], v[74:75], v[38:39]
	v_pk_mov_b32 v[242:243], v[28:29], v[28:29] op_sel:[0,1]
	v_pk_mul_f32 v[34:35], v[40:41], v[230:231] op_sel:[1,0]
	v_pk_mul_f32 v[36:37], v[42:43], v[44:45] op_sel:[1,0]
	v_accvgpr_read_b32 v47, a173
	v_pk_mul_f32 v[20:21], v[64:65], v[92:93]
	v_pk_mul_f32 v[28:29], v[66:67], v[242:243]
	v_pk_fma_f32 v[30:31], v[178:179], v[38:39], v[26:27] op_sel:[0,0,1] op_sel_hi:[1,1,0]
	v_pk_fma_f32 v[26:27], v[178:179], v[38:39], v[26:27] op_sel:[0,0,1] op_sel_hi:[1,1,0] neg_lo:[0,0,1] neg_hi:[0,0,1]
	v_pk_fma_f32 v[38:39], v[40:41], v[230:231], v[34:35] op_sel:[0,0,1] op_sel_hi:[1,1,0]
	v_pk_fma_f32 v[34:35], v[40:41], v[230:231], v[34:35] op_sel:[0,0,1] op_sel_hi:[0,1,0] neg_lo:[0,0,1] neg_hi:[0,0,1]
	;; [unrolled: 2-line block ×3, first 2 shown]
	v_accvgpr_read_b32 v48, a174
	v_accvgpr_read_b32 v49, a175
	s_waitcnt lgkmcnt(1)
	v_pk_mul_f32 v[42:43], v[46:47], v[88:89] op_sel:[1,0]
	s_waitcnt lgkmcnt(0)
	v_pk_mov_b32 v[230:231], v[52:53], v[52:53] op_sel:[0,1]
	v_accvgpr_read_b32 v64, a160
	v_pk_fma_f32 v[44:45], v[46:47], v[88:89], v[42:43] op_sel:[0,0,1] op_sel_hi:[1,1,0]
	v_pk_fma_f32 v[42:43], v[46:47], v[88:89], v[42:43] op_sel:[0,0,1] op_sel_hi:[0,1,0] neg_lo:[0,0,1] neg_hi:[0,0,1]
	v_pk_mul_f32 v[46:47], v[48:49], v[50:51] op_sel:[1,0]
	v_pk_mov_b32 v[228:229], v[50:51], v[50:51] op_sel:[0,1]
	v_pk_mul_f32 v[54:55], v[58:59], v[82:83] op_sel:[1,0]
	v_accvgpr_read_b32 v65, a161
	v_pk_fma_f32 v[50:51], v[48:49], v[228:229], v[46:47] op_sel:[0,0,1] op_sel_hi:[1,1,0]
	v_pk_fma_f32 v[46:47], v[48:49], v[228:229], v[46:47] op_sel:[0,0,1] op_sel_hi:[0,1,0] neg_lo:[0,0,1] neg_hi:[0,0,1]
	v_pk_mul_f32 v[48:49], v[56:57], v[248:249]
	v_pk_fma_f32 v[56:57], v[58:59], v[82:83], v[54:55] op_sel:[0,0,1] op_sel_hi:[1,1,0]
	v_pk_fma_f32 v[54:55], v[58:59], v[82:83], v[54:55] op_sel:[0,0,1] op_sel_hi:[0,1,0] neg_lo:[0,0,1] neg_hi:[0,0,1]
	v_accvgpr_read_b32 v66, a162
	v_accvgpr_read_b32 v67, a163
	v_pk_mul_f32 v[58:59], v[64:65], v[76:77] op_sel:[1,0]
	v_pk_fma_f32 v[52:53], v[60:61], v[248:249], v[48:49] op_sel:[0,0,1] op_sel_hi:[1,1,0]
	v_pk_fma_f32 v[48:49], v[60:61], v[248:249], v[48:49] op_sel:[0,0,1] op_sel_hi:[1,1,0] neg_lo:[0,0,1] neg_hi:[0,0,1]
	v_pk_fma_f32 v[60:61], v[64:65], v[76:77], v[58:59] op_sel:[0,0,1] op_sel_hi:[1,1,0]
	v_pk_fma_f32 v[58:59], v[64:65], v[76:77], v[58:59] op_sel:[0,0,1] op_sel_hi:[0,1,0] neg_lo:[0,0,1] neg_hi:[0,0,1]
	v_pk_mul_f32 v[62:63], v[66:67], v[70:71] op_sel:[1,0]
	v_pk_fma_f32 v[64:65], v[66:67], v[70:71], v[62:63] op_sel:[0,0,1] op_sel_hi:[1,1,0]
	v_pk_fma_f32 v[62:63], v[66:67], v[70:71], v[62:63] op_sel:[0,0,1] op_sel_hi:[0,1,0] neg_lo:[0,0,1] neg_hi:[0,0,1]
	v_mov_b32_e32 v61, v59
	v_mov_b32_e32 v7, v1
	;; [unrolled: 1-line block ×3, first 2 shown]
	v_pk_add_f32 v[0:1], v[184:185], v[60:61]
	v_mov_b32_e32 v39, v35
	v_pk_add_f32 v[0:1], v[0:1], v[64:65]
	v_mov_b32_e32 v41, v37
	v_pk_add_f32 v[0:1], v[0:1], v[38:39]
	v_mov_b32_e32 v45, v43
	v_pk_add_f32 v[0:1], v[0:1], v[40:41]
	v_mov_b32_e32 v51, v47
	v_pk_add_f32 v[0:1], v[0:1], v[44:45]
	v_mov_b32_e32 v57, v55
	v_pk_add_f32 v[0:1], v[0:1], v[50:51]
	v_mov_b32_e32 v53, v49
	v_pk_add_f32 v[0:1], v[0:1], v[56:57]
	v_pk_fma_f32 v[8:9], v[168:169], v[10:11], v[4:5] op_sel:[0,0,1] op_sel_hi:[1,1,0]
	v_pk_fma_f32 v[4:5], v[168:169], v[10:11], v[4:5] op_sel:[0,0,1] op_sel_hi:[1,1,0] neg_lo:[0,0,1] neg_hi:[0,0,1]
	v_pk_mul_f32 v[10:11], v[86:87], v[236:237]
	v_pk_add_f32 v[0:1], v[0:1], v[52:53]
	v_pk_fma_f32 v[14:15], v[170:171], v[236:237], v[10:11] op_sel:[0,0,1] op_sel_hi:[1,1,0]
	v_pk_fma_f32 v[10:11], v[170:171], v[236:237], v[10:11] op_sel:[0,0,1] op_sel_hi:[1,1,0] neg_lo:[0,0,1] neg_hi:[0,0,1]
	v_mov_b32_e32 v9, v5
	v_pk_add_f32 v[0:1], v[0:1], v[6:7]
	v_pk_mul_f32 v[18:19], v[80:81], v[24:25]
	v_mov_b32_e32 v15, v11
	v_pk_add_f32 v[0:1], v[0:1], v[8:9]
	v_pk_fma_f32 v[22:23], v[174:175], v[24:25], v[18:19] op_sel:[0,0,1] op_sel_hi:[1,1,0]
	v_pk_fma_f32 v[18:19], v[174:175], v[24:25], v[18:19] op_sel:[0,0,1] op_sel_hi:[1,1,0] neg_lo:[0,0,1] neg_hi:[0,0,1]
	v_mov_b32_e32 v17, v13
	v_pk_add_f32 v[0:1], v[0:1], v[14:15]
	v_pk_fma_f32 v[24:25], v[176:177], v[92:93], v[20:21] op_sel:[0,0,1] op_sel_hi:[1,1,0]
	v_pk_fma_f32 v[20:21], v[176:177], v[92:93], v[20:21] op_sel:[0,0,1] op_sel_hi:[1,1,0] neg_lo:[0,0,1] neg_hi:[0,0,1]
	;; [unrolled: 4-line block ×3, first 2 shown]
	v_mov_b32_e32 v25, v21
	v_pk_add_f32 v[0:1], v[0:1], v[22:23]
	v_mov_b32_e32 v31, v27
	v_mov_b32_e32 v33, v29
	v_pk_add_f32 v[0:1], v[0:1], v[24:25]
	v_pk_add_f32 v[0:1], v[0:1], v[30:31]
	v_pk_add_f32 v[228:229], v[60:61], v[32:33] neg_lo:[0,1] neg_hi:[0,1]
	s_mov_b32 s18, 0xbeb8f4ab
	v_pk_add_f32 v[4:5], v[0:1], v[32:33]
	v_pk_add_f32 v[216:217], v[60:61], v[32:33]
	v_pk_add_f32 v[252:253], v[64:65], v[30:31] neg_lo:[0,1] neg_hi:[0,1]
	s_mov_b32 s12, 0x3f6eb680
	v_pk_mul_f32 v[0:1], v[228:229], s[18:19] op_sel_hi:[1,0]
	s_mov_b32 s30, 0xbf2c7751
	v_pk_add_f32 v[240:241], v[64:65], v[30:31]
	v_pk_fma_f32 v[10:11], v[216:217], s[12:13], v[0:1] op_sel:[0,0,1] op_sel_hi:[1,0,0]
	v_pk_fma_f32 v[0:1], v[216:217], s[12:13], v[0:1] op_sel:[0,0,1] op_sel_hi:[1,0,0] neg_lo:[0,0,1] neg_hi:[0,0,1]
	s_mov_b32 s0, 0x3f3d2fb0
	v_pk_mul_f32 v[12:13], v[252:253], s[30:31] op_sel_hi:[1,0]
	v_accvgpr_write_b32 a11, v11
	v_mov_b32_e32 v11, v1
	v_pk_fma_f32 v[2:3], v[240:241], s[0:1], v[12:13] op_sel:[0,0,1] op_sel_hi:[1,0,0]
	v_pk_fma_f32 v[74:75], v[240:241], s[0:1], v[12:13] op_sel:[0,0,1] op_sel_hi:[1,0,0] neg_lo:[0,0,1] neg_hi:[0,0,1]
	v_pk_add_f32 v[10:11], v[184:185], v[10:11]
	v_mov_b32_e32 v12, v2
	v_mov_b32_e32 v13, v75
	v_pk_add_f32 v[32:33], v[38:39], v[24:25] neg_lo:[0,1] neg_hi:[0,1]
	s_mov_b32 s42, 0xbf65296c
	v_pk_add_f32 v[10:11], v[12:13], v[10:11]
	v_pk_add_f32 v[36:37], v[38:39], v[24:25]
	s_mov_b32 s2, 0x3ee437d1
	v_pk_mul_f32 v[12:13], v[32:33], s[42:43] op_sel_hi:[1,0]
	v_accvgpr_write_b32 a13, v3
	v_pk_fma_f32 v[2:3], v[36:37], s[2:3], v[12:13] op_sel:[0,0,1] op_sel_hi:[1,0,0]
	v_pk_fma_f32 v[80:81], v[36:37], s[2:3], v[12:13] op_sel:[0,0,1] op_sel_hi:[1,0,0] neg_lo:[0,0,1] neg_hi:[0,0,1]
	v_mov_b32_e32 v12, v2
	v_mov_b32_e32 v13, v81
	v_pk_add_f32 v[64:65], v[40:41], v[22:23] neg_lo:[0,1] neg_hi:[0,1]
	s_mov_b32 s28, 0xbf7ee86f
	v_pk_add_f32 v[10:11], v[12:13], v[10:11]
	v_pk_add_f32 v[254:255], v[40:41], v[22:23]
	s_mov_b32 s8, 0x3dbcf732
	v_pk_mul_f32 v[12:13], v[64:65], s[28:29] op_sel_hi:[1,0]
	v_accvgpr_write_b32 a15, v3
	v_pk_fma_f32 v[2:3], v[254:255], s[8:9], v[12:13] op_sel:[0,0,1] op_sel_hi:[1,0,0]
	v_pk_fma_f32 v[86:87], v[254:255], s[8:9], v[12:13] op_sel:[0,0,1] op_sel_hi:[1,0,0] neg_lo:[0,0,1] neg_hi:[0,0,1]
	;; [unrolled: 11-line block ×3, first 2 shown]
	v_mov_b32_e32 v12, v2
	v_mov_b32_e32 v13, v89
	v_pk_add_f32 v[40:41], v[50:51], v[14:15] neg_lo:[0,1] neg_hi:[0,1]
	s_mov_b32 s22, 0xbf4c4adb
	v_pk_add_f32 v[10:11], v[12:13], v[10:11]
	v_pk_add_f32 v[68:69], v[50:51], v[14:15]
	s_mov_b32 s20, 0xbf1a4643
	v_pk_mul_f32 v[12:13], v[40:41], s[22:23] op_sel_hi:[1,0]
	v_pk_add_f32 v[44:45], v[56:57], v[8:9] neg_lo:[0,1] neg_hi:[0,1]
	s_mov_b32 s26, 0xbf06c442
	v_accvgpr_write_b32 a21, v3
	v_pk_fma_f32 v[2:3], v[68:69], s[20:21], v[12:13] op_sel:[0,0,1] op_sel_hi:[1,0,0]
	v_pk_fma_f32 v[92:93], v[68:69], s[20:21], v[12:13] op_sel:[0,0,1] op_sel_hi:[1,0,0] neg_lo:[0,0,1] neg_hi:[0,0,1]
	v_pk_add_f32 v[42:43], v[56:57], v[8:9]
	s_mov_b32 s24, 0xbf59a7d5
	v_pk_mul_f32 v[8:9], v[44:45], s[26:27] op_sel_hi:[1,0]
	v_pk_add_f32 v[46:47], v[52:53], v[6:7]
	v_pk_add_f32 v[52:53], v[52:53], v[6:7] neg_lo:[0,1] neg_hi:[0,1]
	s_mov_b32 s36, 0xbe3c28d5
	v_mov_b32_e32 v12, v2
	v_accvgpr_write_b32 a23, v3
	v_mov_b32_e32 v13, v93
	v_pk_fma_f32 v[2:3], v[42:43], s[24:25], v[8:9] op_sel:[0,0,1] op_sel_hi:[1,0,0]
	v_pk_fma_f32 v[168:169], v[42:43], s[24:25], v[8:9] op_sel:[0,0,1] op_sel_hi:[1,0,0] neg_lo:[0,0,1] neg_hi:[0,0,1]
	s_mov_b32 s34, 0xbf7ba420
	v_pk_mul_f32 v[6:7], v[52:53], s[36:37] op_sel_hi:[1,0]
	v_pk_add_f32 v[10:11], v[12:13], v[10:11]
	v_mov_b32_e32 v8, v2
	v_accvgpr_write_b32 a25, v3
	v_mov_b32_e32 v9, v169
	v_pk_fma_f32 v[2:3], v[46:47], s[34:35], v[6:7] op_sel:[0,0,1] op_sel_hi:[1,0,0]
	v_pk_fma_f32 v[82:83], v[46:47], s[34:35], v[6:7] op_sel:[0,0,1] op_sel_hi:[1,0,0] neg_lo:[0,0,1] neg_hi:[0,0,1]
	v_pk_add_f32 v[8:9], v[8:9], v[10:11]
	v_mov_b32_e32 v6, v2
	v_mov_b32_e32 v7, v83
	v_pk_add_f32 v[6:7], v[6:7], v[8:9]
	v_accvgpr_read_b32 v115, a171
	s_waitcnt lgkmcnt(0)
	; wave barrier
	ds_write2_b64 v115, v[4:5], v[6:7] offset1:7
	v_pk_mul_f32 v[4:5], v[228:229], s[30:31] op_sel_hi:[1,0]
	v_accvgpr_write_b32 a27, v3
	v_pk_fma_f32 v[2:3], v[216:217], s[0:1], v[4:5] op_sel:[0,0,1] op_sel_hi:[1,0,0]
	v_pk_fma_f32 v[8:9], v[216:217], s[0:1], v[4:5] op_sel:[0,0,1] op_sel_hi:[1,0,0] neg_lo:[0,0,1] neg_hi:[0,0,1]
	v_pk_mul_f32 v[6:7], v[252:253], s[28:29] op_sel_hi:[1,0]
	v_mov_b32_e32 v4, v2
	v_mov_b32_e32 v1, v3
	;; [unrolled: 1-line block ×3, first 2 shown]
	v_pk_fma_f32 v[2:3], v[240:241], s[8:9], v[6:7] op_sel:[0,0,1] op_sel_hi:[1,0,0]
	v_pk_fma_f32 v[12:13], v[240:241], s[8:9], v[6:7] op_sel:[0,0,1] op_sel_hi:[1,0,0] neg_lo:[0,0,1] neg_hi:[0,0,1]
	v_pk_add_f32 v[4:5], v[184:185], v[4:5]
	v_mov_b32_e32 v6, v2
	v_mov_b32_e32 v7, v13
	v_pk_add_f32 v[4:5], v[6:7], v[4:5]
	v_pk_mul_f32 v[6:7], v[32:33], s[22:23] op_sel_hi:[1,0]
	v_mov_b32_e32 v75, v3
	v_pk_fma_f32 v[2:3], v[36:37], s[20:21], v[6:7] op_sel:[0,0,1] op_sel_hi:[1,0,0]
	v_pk_fma_f32 v[18:19], v[36:37], s[20:21], v[6:7] op_sel:[0,0,1] op_sel_hi:[1,0,0] neg_lo:[0,0,1] neg_hi:[0,0,1]
	v_mov_b32_e32 v6, v2
	v_mov_b32_e32 v7, v19
	v_pk_add_f32 v[4:5], v[6:7], v[4:5]
	v_pk_mul_f32 v[6:7], v[64:65], s[36:37] op_sel_hi:[1,0]
	v_mov_b32_e32 v81, v3
	v_pk_fma_f32 v[2:3], v[254:255], s[34:35], v[6:7] op_sel:[0,0,1] op_sel_hi:[1,0,0]
	v_pk_fma_f32 v[22:23], v[254:255], s[34:35], v[6:7] op_sel:[0,0,1] op_sel_hi:[1,0,0] neg_lo:[0,0,1] neg_hi:[0,0,1]
	v_mov_b32_e32 v6, v2
	v_mov_b32_e32 v7, v23
	s_mov_b32 s50, 0x3f06c442
	v_pk_add_f32 v[4:5], v[6:7], v[4:5]
	v_pk_mul_f32 v[6:7], v[48:49], s[50:51] op_sel_hi:[1,0]
	v_mov_b32_e32 v83, v3
	v_pk_fma_f32 v[2:3], v[66:67], s[24:25], v[6:7] op_sel:[0,0,1] op_sel_hi:[1,0,0]
	v_pk_fma_f32 v[26:27], v[66:67], s[24:25], v[6:7] op_sel:[0,0,1] op_sel_hi:[1,0,0] neg_lo:[0,0,1] neg_hi:[0,0,1]
	v_mov_b32_e32 v6, v2
	v_mov_b32_e32 v7, v27
	s_mov_b32 s46, 0x3f763a35
	;; [unrolled: 8-line block ×3, first 2 shown]
	v_pk_add_f32 v[4:5], v[6:7], v[4:5]
	v_pk_mul_f32 v[6:7], v[44:45], s[38:39] op_sel_hi:[1,0]
	v_pk_fma_f32 v[172:173], v[42:43], s[2:3], v[6:7] op_sel:[0,0,1] op_sel_hi:[1,0,0]
	v_pk_fma_f32 v[176:177], v[42:43], s[2:3], v[6:7] op_sel:[0,0,1] op_sel_hi:[1,0,0] neg_lo:[0,0,1] neg_hi:[0,0,1]
	v_mov_b32_e32 v6, v172
	v_mov_b32_e32 v7, v177
	s_mov_b32 s40, 0x3eb8f4ab
	v_accvgpr_write_b32 a163, v85
	v_pk_add_f32 v[4:5], v[6:7], v[4:5]
	v_pk_mul_f32 v[6:7], v[52:53], s[40:41] op_sel_hi:[1,0]
	v_accvgpr_write_b32 a162, v84
	v_pk_fma_f32 v[84:85], v[46:47], s[12:13], v[6:7] op_sel:[0,0,1] op_sel_hi:[1,0,0]
	v_pk_fma_f32 v[180:181], v[46:47], s[12:13], v[6:7] op_sel:[0,0,1] op_sel_hi:[1,0,0] neg_lo:[0,0,1] neg_hi:[0,0,1]
	v_mov_b32_e32 v6, v84
	v_mov_b32_e32 v7, v181
	v_pk_add_f32 v[4:5], v[6:7], v[4:5]
	v_pk_mul_f32 v[6:7], v[228:229], s[42:43] op_sel_hi:[1,0]
	v_pk_fma_f32 v[188:189], v[216:217], s[2:3], v[6:7] op_sel:[0,0,1] op_sel_hi:[1,0,0]
	v_pk_fma_f32 v[182:183], v[216:217], s[2:3], v[6:7] op_sel:[0,0,1] op_sel_hi:[1,0,0] neg_lo:[0,0,1] neg_hi:[0,0,1]
	v_pk_mul_f32 v[34:35], v[252:253], s[22:23] op_sel_hi:[1,0]
	v_mov_b32_e32 v6, v188
	v_mov_b32_e32 v7, v183
	v_pk_fma_f32 v[196:197], v[240:241], s[20:21], v[34:35] op_sel:[0,0,1] op_sel_hi:[1,0,0]
	v_pk_fma_f32 v[192:193], v[240:241], s[20:21], v[34:35] op_sel:[0,0,1] op_sel_hi:[1,0,0] neg_lo:[0,0,1] neg_hi:[0,0,1]
	v_pk_add_f32 v[6:7], v[184:185], v[6:7]
	v_mov_b32_e32 v34, v196
	v_mov_b32_e32 v35, v193
	s_mov_b32 s54, 0x3e3c28d5
	v_pk_add_f32 v[6:7], v[34:35], v[6:7]
	v_pk_mul_f32 v[34:35], v[32:33], s[54:55] op_sel_hi:[1,0]
	v_pk_fma_f32 v[200:201], v[36:37], s[34:35], v[34:35] op_sel:[0,0,1] op_sel_hi:[1,0,0]
	v_pk_fma_f32 v[204:205], v[36:37], s[34:35], v[34:35] op_sel:[0,0,1] op_sel_hi:[1,0,0] neg_lo:[0,0,1] neg_hi:[0,0,1]
	v_mov_b32_e32 v34, v200
	v_mov_b32_e32 v35, v205
	v_pk_add_f32 v[6:7], v[34:35], v[6:7]
	v_pk_mul_f32 v[34:35], v[64:65], s[46:47] op_sel_hi:[1,0]
	v_pk_fma_f32 v[208:209], v[254:255], s[14:15], v[34:35] op_sel:[0,0,1] op_sel_hi:[1,0,0]
	v_pk_fma_f32 v[212:213], v[254:255], s[14:15], v[34:35] op_sel:[0,0,1] op_sel_hi:[1,0,0] neg_lo:[0,0,1] neg_hi:[0,0,1]
	v_mov_b32_e32 v34, v208
	v_mov_b32_e32 v35, v213
	s_mov_b32 s44, 0x3f2c7751
	v_pk_add_f32 v[6:7], v[34:35], v[6:7]
	v_pk_mul_f32 v[34:35], v[48:49], s[44:45] op_sel_hi:[1,0]
	v_pk_fma_f32 v[220:221], v[66:67], s[0:1], v[34:35] op_sel:[0,0,1] op_sel_hi:[1,0,0]
	v_pk_fma_f32 v[224:225], v[66:67], s[0:1], v[34:35] op_sel:[0,0,1] op_sel_hi:[1,0,0] neg_lo:[0,0,1] neg_hi:[0,0,1]
	v_mov_b32_e32 v34, v220
	v_mov_b32_e32 v35, v225
	v_pk_add_f32 v[6:7], v[34:35], v[6:7]
	v_pk_mul_f32 v[34:35], v[40:41], s[18:19] op_sel_hi:[1,0]
	v_pk_fma_f32 v[76:77], v[68:69], s[12:13], v[34:35] op_sel:[0,0,1] op_sel_hi:[1,0,0]
	v_pk_fma_f32 v[236:237], v[68:69], s[12:13], v[34:35] op_sel:[0,0,1] op_sel_hi:[1,0,0] neg_lo:[0,0,1] neg_hi:[0,0,1]
	v_mov_b32_e32 v34, v76
	v_mov_b32_e32 v35, v237
	;; [unrolled: 6-line block ×3, first 2 shown]
	v_pk_mul_f32 v[38:39], v[52:53], s[26:27] op_sel_hi:[1,0]
	v_pk_add_f32 v[6:7], v[34:35], v[6:7]
	v_pk_fma_f32 v[34:35], v[46:47], s[24:25], v[38:39] op_sel:[0,0,1] op_sel_hi:[1,0,0]
	v_pk_fma_f32 v[38:39], v[46:47], s[24:25], v[38:39] op_sel:[0,0,1] op_sel_hi:[1,0,0] neg_lo:[0,0,1] neg_hi:[0,0,1]
	v_mov_b32_e32 v50, v34
	v_mov_b32_e32 v51, v39
	v_pk_add_f32 v[6:7], v[50:51], v[6:7]
	ds_write2_b64 v115, v[4:5], v[6:7] offset0:14 offset1:21
	v_pk_mul_f32 v[4:5], v[228:229], s[28:29] op_sel_hi:[1,0]
	v_pk_fma_f32 v[56:57], v[216:217], s[8:9], v[4:5] op_sel:[0,0,1] op_sel_hi:[1,0,0]
	v_pk_fma_f32 v[54:55], v[216:217], s[8:9], v[4:5] op_sel:[0,0,1] op_sel_hi:[1,0,0] neg_lo:[0,0,1] neg_hi:[0,0,1]
	v_pk_mul_f32 v[6:7], v[252:253], s[36:37] op_sel_hi:[1,0]
	v_mov_b32_e32 v4, v56
	v_mov_b32_e32 v5, v55
	v_pk_fma_f32 v[70:71], v[240:241], s[34:35], v[6:7] op_sel:[0,0,1] op_sel_hi:[1,0,0]
	v_pk_fma_f32 v[58:59], v[240:241], s[34:35], v[6:7] op_sel:[0,0,1] op_sel_hi:[1,0,0] neg_lo:[0,0,1] neg_hi:[0,0,1]
	v_pk_add_f32 v[4:5], v[184:185], v[4:5]
	v_mov_b32_e32 v6, v70
	v_mov_b32_e32 v7, v59
	v_pk_add_f32 v[4:5], v[6:7], v[4:5]
	v_pk_mul_f32 v[6:7], v[32:33], s[46:47] op_sel_hi:[1,0]
	v_pk_fma_f32 v[60:61], v[36:37], s[14:15], v[6:7] op_sel:[0,0,1] op_sel_hi:[1,0,0]
	v_pk_fma_f32 v[50:51], v[36:37], s[14:15], v[6:7] op_sel:[0,0,1] op_sel_hi:[1,0,0] neg_lo:[0,0,1] neg_hi:[0,0,1]
	v_mov_b32_e32 v6, v60
	v_mov_b32_e32 v7, v51
	v_pk_add_f32 v[4:5], v[6:7], v[4:5]
	v_pk_mul_f32 v[6:7], v[64:65], s[40:41] op_sel_hi:[1,0]
	v_pk_fma_f32 v[24:25], v[254:255], s[12:13], v[6:7] op_sel:[0,0,1] op_sel_hi:[1,0,0]
	v_pk_fma_f32 v[62:63], v[254:255], s[12:13], v[6:7] op_sel:[0,0,1] op_sel_hi:[1,0,0] neg_lo:[0,0,1] neg_hi:[0,0,1]
	;; [unrolled: 6-line block ×4, first 2 shown]
	v_mov_b32_e32 v102, v96
	v_mov_b32_e32 v103, v99
	s_mov_b32 s52, 0x3f4c4adb
	v_pk_add_f32 v[104:105], v[102:103], v[100:101]
	v_pk_mul_f32 v[102:103], v[44:45], s[52:53] op_sel_hi:[1,0]
	v_pk_fma_f32 v[100:101], v[42:43], s[20:21], v[102:103] op_sel:[0,0,1] op_sel_hi:[1,0,0]
	v_pk_fma_f32 v[102:103], v[42:43], s[20:21], v[102:103] op_sel:[0,0,1] op_sel_hi:[1,0,0] neg_lo:[0,0,1] neg_hi:[0,0,1]
	v_mov_b32_e32 v106, v100
	v_mov_b32_e32 v107, v103
	v_pk_add_f32 v[108:109], v[106:107], v[104:105]
	v_pk_mul_f32 v[106:107], v[52:53], s[44:45] op_sel_hi:[1,0]
	v_pk_fma_f32 v[104:105], v[46:47], s[0:1], v[106:107] op_sel:[0,0,1] op_sel_hi:[1,0,0]
	v_pk_fma_f32 v[106:107], v[46:47], s[0:1], v[106:107] op_sel:[0,0,1] op_sel_hi:[1,0,0] neg_lo:[0,0,1] neg_hi:[0,0,1]
	v_mov_b32_e32 v110, v104
	v_mov_b32_e32 v111, v107
	;; [unrolled: 6-line block ×7, first 2 shown]
	s_mov_b32 s48, 0x3f7ee86f
	v_pk_add_f32 v[132:133], v[130:131], v[128:129]
	v_pk_mul_f32 v[130:131], v[40:41], s[48:49] op_sel_hi:[1,0]
	v_pk_fma_f32 v[128:129], v[68:69], s[8:9], v[130:131] op_sel:[0,0,1] op_sel_hi:[1,0,0]
	v_pk_fma_f32 v[130:131], v[68:69], s[8:9], v[130:131] op_sel:[0,0,1] op_sel_hi:[1,0,0] neg_lo:[0,0,1] neg_hi:[0,0,1]
	v_mov_b32_e32 v134, v128
	v_mov_b32_e32 v135, v131
	v_pk_add_f32 v[150:151], v[134:135], v[132:133]
	v_pk_mul_f32 v[134:135], v[44:45], s[18:19] op_sel_hi:[1,0]
	v_pk_fma_f32 v[14:15], v[42:43], s[12:13], v[134:135] op_sel:[0,0,1] op_sel_hi:[1,0,0]
	v_pk_fma_f32 v[134:135], v[42:43], s[12:13], v[134:135] op_sel:[0,0,1] op_sel_hi:[1,0,0] neg_lo:[0,0,1] neg_hi:[0,0,1]
	v_pk_mul_f32 v[138:139], v[52:53], s[22:23] op_sel_hi:[1,0]
	v_mov_b32_e32 v132, v14
	v_mov_b32_e32 v133, v135
	v_pk_fma_f32 v[10:11], v[46:47], s[20:21], v[138:139] op_sel:[0,0,1] op_sel_hi:[1,0,0]
	v_pk_fma_f32 v[138:139], v[46:47], s[20:21], v[138:139] op_sel:[0,0,1] op_sel_hi:[1,0,0] neg_lo:[0,0,1] neg_hi:[0,0,1]
	v_pk_add_f32 v[132:133], v[132:133], v[150:151]
	v_mov_b32_e32 v150, v10
	v_mov_b32_e32 v151, v139
	v_pk_add_f32 v[132:133], v[150:151], v[132:133]
	ds_write2_b64 v115, v[144:145], v[132:133] offset0:28 offset1:35
	v_pk_mul_f32 v[132:133], v[228:229], s[22:23] op_sel_hi:[1,0]
	v_pk_fma_f32 v[142:143], v[216:217], s[20:21], v[132:133] op_sel:[0,0,1] op_sel_hi:[1,0,0]
	v_pk_fma_f32 v[132:133], v[216:217], s[20:21], v[132:133] op_sel:[0,0,1] op_sel_hi:[1,0,0] neg_lo:[0,0,1] neg_hi:[0,0,1]
	v_pk_mul_f32 v[150:151], v[252:253], s[46:47] op_sel_hi:[1,0]
	v_mov_b32_e32 v144, v142
	v_mov_b32_e32 v145, v133
	v_pk_fma_f32 v[146:147], v[240:241], s[14:15], v[150:151] op_sel:[0,0,1] op_sel_hi:[1,0,0]
	v_pk_fma_f32 v[148:149], v[240:241], s[14:15], v[150:151] op_sel:[0,0,1] op_sel_hi:[1,0,0] neg_lo:[0,0,1] neg_hi:[0,0,1]
	v_pk_add_f32 v[144:145], v[184:185], v[144:145]
	v_mov_b32_e32 v150, v146
	v_mov_b32_e32 v151, v149
	v_pk_add_f32 v[144:145], v[150:151], v[144:145]
	v_pk_mul_f32 v[150:151], v[32:33], s[18:19] op_sel_hi:[1,0]
	v_pk_fma_f32 v[152:153], v[36:37], s[12:13], v[150:151] op_sel:[0,0,1] op_sel_hi:[1,0,0]
	v_pk_fma_f32 v[150:151], v[36:37], s[12:13], v[150:151] op_sel:[0,0,1] op_sel_hi:[1,0,0] neg_lo:[0,0,1] neg_hi:[0,0,1]
	v_mov_b32_e32 v154, v152
	v_mov_b32_e32 v155, v151
	v_pk_add_f32 v[144:145], v[154:155], v[144:145]
	v_pk_mul_f32 v[154:155], v[64:65], s[26:27] op_sel_hi:[1,0]
	v_pk_fma_f32 v[156:157], v[254:255], s[24:25], v[154:155] op_sel:[0,0,1] op_sel_hi:[1,0,0]
	v_pk_fma_f32 v[154:155], v[254:255], s[24:25], v[154:155] op_sel:[0,0,1] op_sel_hi:[1,0,0] neg_lo:[0,0,1] neg_hi:[0,0,1]
	;; [unrolled: 6-line block ×5, first 2 shown]
	v_mov_b32_e32 v89, v3
	v_mov_b32_e32 v2, v6
	;; [unrolled: 1-line block ×3, first 2 shown]
	v_accvgpr_write_b32 a167, v79
	v_pk_add_f32 v[2:3], v[2:3], v[144:145]
	v_pk_mul_f32 v[144:145], v[52:53], s[38:39] op_sel_hi:[1,0]
	v_accvgpr_write_b32 a166, v78
	v_pk_fma_f32 v[78:79], v[46:47], s[2:3], v[144:145] op_sel:[0,0,1] op_sel_hi:[1,0,0]
	v_pk_fma_f32 v[144:145], v[46:47], s[2:3], v[144:145] op_sel:[0,0,1] op_sel_hi:[1,0,0] neg_lo:[0,0,1] neg_hi:[0,0,1]
	v_mov_b32_e32 v174, v78
	v_mov_b32_e32 v175, v145
	v_accvgpr_write_b32 a161, v91
	v_pk_add_f32 v[2:3], v[174:175], v[2:3]
	v_pk_mul_f32 v[174:175], v[228:229], s[26:27] op_sel_hi:[1,0]
	v_accvgpr_write_b32 a82, v94
	v_accvgpr_write_b32 a160, v90
	v_pk_fma_f32 v[90:91], v[216:217], s[24:25], v[174:175] op_sel:[0,0,1] op_sel_hi:[1,0,0]
	v_pk_fma_f32 v[174:175], v[216:217], s[24:25], v[174:175] op_sel:[0,0,1] op_sel_hi:[1,0,0] neg_lo:[0,0,1] neg_hi:[0,0,1]
	v_pk_mul_f32 v[170:171], v[252:253], s[38:39] op_sel_hi:[1,0]
	v_accvgpr_write_b32 a83, v95
	v_mov_b32_e32 v94, v90
	v_mov_b32_e32 v95, v175
	v_pk_fma_f32 v[136:137], v[240:241], s[2:3], v[170:171] op_sel:[0,0,1] op_sel_hi:[1,0,0]
	v_pk_fma_f32 v[170:171], v[240:241], s[2:3], v[170:171] op_sel:[0,0,1] op_sel_hi:[1,0,0] neg_lo:[0,0,1] neg_hi:[0,0,1]
	v_pk_add_f32 v[94:95], v[184:185], v[94:95]
	v_mov_b32_e32 v178, v136
	v_mov_b32_e32 v179, v171
	v_pk_add_f32 v[94:95], v[178:179], v[94:95]
	v_pk_mul_f32 v[178:179], v[32:33], s[28:29] op_sel_hi:[1,0]
	v_pk_fma_f32 v[190:191], v[36:37], s[8:9], v[178:179] op_sel:[0,0,1] op_sel_hi:[1,0,0]
	v_pk_fma_f32 v[178:179], v[36:37], s[8:9], v[178:179] op_sel:[0,0,1] op_sel_hi:[1,0,0] neg_lo:[0,0,1] neg_hi:[0,0,1]
	v_mov_b32_e32 v140, v190
	v_mov_b32_e32 v141, v179
	v_pk_add_f32 v[94:95], v[140:141], v[94:95]
	v_pk_mul_f32 v[140:141], v[64:65], s[52:53] op_sel_hi:[1,0]
	v_pk_fma_f32 v[194:195], v[254:255], s[20:21], v[140:141] op_sel:[0,0,1] op_sel_hi:[1,0,0]
	v_pk_fma_f32 v[140:141], v[254:255], s[20:21], v[140:141] op_sel:[0,0,1] op_sel_hi:[1,0,0] neg_lo:[0,0,1] neg_hi:[0,0,1]
	v_pk_mov_b32 v[242:243], v[72:73], v[72:73] op_sel:[0,1]
	v_mov_b32_e32 v72, v194
	v_mov_b32_e32 v73, v141
	v_pk_add_f32 v[72:73], v[72:73], v[94:95]
	v_pk_mul_f32 v[94:95], v[48:49], s[18:19] op_sel_hi:[1,0]
	v_pk_fma_f32 v[202:203], v[66:67], s[12:13], v[94:95] op_sel:[0,0,1] op_sel_hi:[1,0,0]
	v_pk_fma_f32 v[94:95], v[66:67], s[12:13], v[94:95] op_sel:[0,0,1] op_sel_hi:[1,0,0] neg_lo:[0,0,1] neg_hi:[0,0,1]
	v_mov_b32_e32 v198, v202
	v_mov_b32_e32 v199, v95
	v_pk_add_f32 v[72:73], v[198:199], v[72:73]
	v_pk_mul_f32 v[198:199], v[40:41], s[36:37] op_sel_hi:[1,0]
	v_pk_fma_f32 v[210:211], v[68:69], s[34:35], v[198:199] op_sel:[0,0,1] op_sel_hi:[1,0,0]
	v_pk_fma_f32 v[198:199], v[68:69], s[34:35], v[198:199] op_sel:[0,0,1] op_sel_hi:[1,0,0] neg_lo:[0,0,1] neg_hi:[0,0,1]
	;; [unrolled: 6-line block ×4, first 2 shown]
	v_mov_b32_e32 v222, v226
	v_mov_b32_e32 v223, v215
	v_pk_add_f32 v[72:73], v[222:223], v[72:73]
	ds_write2_b64 v115, v[2:3], v[72:73] offset0:42 offset1:49
	v_pk_mul_f32 v[2:3], v[228:229], s[36:37] op_sel_hi:[1,0]
	v_pk_fma_f32 v[72:73], v[216:217], s[34:35], v[2:3] op_sel:[0,0,1] op_sel_hi:[1,0,0]
	v_pk_fma_f32 v[2:3], v[216:217], s[34:35], v[2:3] op_sel:[0,0,1] op_sel_hi:[1,0,0] neg_lo:[0,0,1] neg_hi:[0,0,1]
	v_pk_mul_f32 v[216:217], v[252:253], s[40:41] op_sel_hi:[1,0]
	v_pk_fma_f32 v[222:223], v[240:241], s[12:13], v[216:217] op_sel:[0,0,1] op_sel_hi:[1,0,0]
	v_pk_fma_f32 v[216:217], v[240:241], s[12:13], v[216:217] op_sel:[0,0,1] op_sel_hi:[1,0,0] neg_lo:[0,0,1] neg_hi:[0,0,1]
	v_mov_b32_e32 v228, v72
	v_mov_b32_e32 v229, v3
	v_pk_add_f32 v[228:229], v[184:185], v[228:229]
	v_mov_b32_e32 v240, v222
	v_mov_b32_e32 v241, v217
	v_pk_mul_f32 v[32:33], v[32:33], s[26:27] op_sel_hi:[1,0]
	v_pk_add_f32 v[228:229], v[240:241], v[228:229]
	v_pk_fma_f32 v[240:241], v[36:37], s[24:25], v[32:33] op_sel:[0,0,1] op_sel_hi:[1,0,0]
	v_pk_fma_f32 v[32:33], v[36:37], s[24:25], v[32:33] op_sel:[0,0,1] op_sel_hi:[1,0,0] neg_lo:[0,0,1] neg_hi:[0,0,1]
	v_mov_b32_e32 v36, v240
	v_mov_b32_e32 v37, v33
	v_pk_mul_f32 v[64:65], v[64:65], s[44:45] op_sel_hi:[1,0]
	v_pk_add_f32 v[36:37], v[36:37], v[228:229]
	v_pk_fma_f32 v[228:229], v[254:255], s[0:1], v[64:65] op_sel:[0,0,1] op_sel_hi:[1,0,0]
	v_pk_fma_f32 v[64:65], v[254:255], s[0:1], v[64:65] op_sel:[0,0,1] op_sel_hi:[1,0,0] neg_lo:[0,0,1] neg_hi:[0,0,1]
	v_mov_b32_e32 v252, v228
	v_mov_b32_e32 v253, v65
	v_pk_mul_f32 v[48:49], v[48:49], s[22:23] op_sel_hi:[1,0]
	v_pk_add_f32 v[36:37], v[252:253], v[36:37]
	v_pk_fma_f32 v[252:253], v[66:67], s[20:21], v[48:49] op_sel:[0,0,1] op_sel_hi:[1,0,0]
	v_pk_fma_f32 v[48:49], v[66:67], s[20:21], v[48:49] op_sel:[0,0,1] op_sel_hi:[1,0,0] neg_lo:[0,0,1] neg_hi:[0,0,1]
	v_mov_b32_e32 v66, v252
	v_mov_b32_e32 v67, v49
	v_pk_mul_f32 v[40:41], v[40:41], s[38:39] op_sel_hi:[1,0]
	v_mov_b32_e32 v3, v73
	v_pk_add_f32 v[36:37], v[66:67], v[36:37]
	v_pk_fma_f32 v[66:67], v[68:69], s[2:3], v[40:41] op_sel:[0,0,1] op_sel_hi:[1,0,0]
	v_pk_fma_f32 v[40:41], v[68:69], s[2:3], v[40:41] op_sel:[0,0,1] op_sel_hi:[1,0,0] neg_lo:[0,0,1] neg_hi:[0,0,1]
	v_mov_b32_e32 v217, v223
	v_pk_add_f32 v[2:3], v[184:185], v[2:3]
	v_mov_b32_e32 v68, v66
	v_mov_b32_e32 v69, v41
	v_pk_mul_f32 v[44:45], v[44:45], s[16:17] op_sel_hi:[1,0]
	v_pk_add_f32 v[2:3], v[216:217], v[2:3]
	v_mov_b32_e32 v33, v241
	v_pk_add_f32 v[36:37], v[68:69], v[36:37]
	v_pk_fma_f32 v[68:69], v[42:43], s[14:15], v[44:45] op_sel:[0,0,1] op_sel_hi:[1,0,0]
	v_pk_fma_f32 v[42:43], v[42:43], s[14:15], v[44:45] op_sel:[0,0,1] op_sel_hi:[1,0,0] neg_lo:[0,0,1] neg_hi:[0,0,1]
	v_pk_add_f32 v[2:3], v[32:33], v[2:3]
	v_mov_b32_e32 v65, v229
	v_mov_b32_e32 v44, v68
	;; [unrolled: 1-line block ×3, first 2 shown]
	v_pk_add_f32 v[2:3], v[64:65], v[2:3]
	v_mov_b32_e32 v49, v253
	v_pk_add_f32 v[36:37], v[44:45], v[36:37]
	v_pk_mul_f32 v[44:45], v[52:53], s[48:49] op_sel_hi:[1,0]
	v_pk_add_f32 v[2:3], v[48:49], v[2:3]
	v_mov_b32_e32 v41, v67
	v_pk_fma_f32 v[52:53], v[46:47], s[8:9], v[44:45] op_sel:[0,0,1] op_sel_hi:[1,0,0]
	v_pk_fma_f32 v[44:45], v[46:47], s[8:9], v[44:45] op_sel:[0,0,1] op_sel_hi:[1,0,0] neg_lo:[0,0,1] neg_hi:[0,0,1]
	v_pk_add_f32 v[2:3], v[40:41], v[2:3]
	v_mov_b32_e32 v43, v69
	v_mov_b32_e32 v46, v52
	;; [unrolled: 1-line block ×3, first 2 shown]
	v_pk_add_f32 v[2:3], v[42:43], v[2:3]
	v_mov_b32_e32 v45, v53
	v_pk_add_f32 v[36:37], v[46:47], v[36:37]
	v_pk_add_f32 v[2:3], v[44:45], v[2:3]
	v_mov_b32_e32 v175, v91
	v_mov_b32_e32 v133, v143
	ds_write2_b64 v115, v[36:37], v[2:3] offset0:56 offset1:63
	v_mov_b32_e32 v171, v137
	v_pk_add_f32 v[2:3], v[184:185], v[174:175]
	v_mov_b32_e32 v149, v147
	v_pk_add_f32 v[32:33], v[184:185], v[132:133]
	v_pk_add_f32 v[2:3], v[170:171], v[2:3]
	v_mov_b32_e32 v179, v191
	v_pk_add_f32 v[32:33], v[148:149], v[32:33]
	v_mov_b32_e32 v151, v153
	;; [unrolled: 2-line block ×12, first 2 shown]
	v_pk_add_f32 v[2:3], v[214:215], v[2:3]
	v_pk_add_f32 v[6:7], v[144:145], v[6:7]
	v_mov_b32_e32 v109, v111
	v_mov_b32_e32 v55, v57
	ds_write2_b64 v115, v[2:3], v[6:7] offset0:70 offset1:77
	v_mov_b32_e32 v113, v17
	v_pk_add_f32 v[2:3], v[184:185], v[108:109]
	v_mov_b32_e32 v59, v71
	v_pk_add_f32 v[6:7], v[184:185], v[54:55]
	v_pk_add_f32 v[2:3], v[112:113], v[2:3]
	v_mov_b32_e32 v119, v117
	v_pk_add_f32 v[6:7], v[58:59], v[6:7]
	v_mov_b32_e32 v51, v61
	;; [unrolled: 2-line block ×6, first 2 shown]
	v_mov_b32_e32 v9, v1
	v_accvgpr_read_b32 v1, a11
	v_pk_add_f32 v[2:3], v[126:127], v[2:3]
	v_mov_b32_e32 v131, v129
	v_pk_add_f32 v[4:5], v[4:5], v[6:7]
	v_mov_b32_e32 v99, v97
	v_mov_b32_e32 v13, v75
	v_accvgpr_read_b32 v75, a13
	v_pk_add_f32 v[0:1], v[184:185], v[0:1]
	v_pk_add_f32 v[2:3], v[130:131], v[2:3]
	v_mov_b32_e32 v135, v15
	v_pk_add_f32 v[4:5], v[98:99], v[4:5]
	v_mov_b32_e32 v103, v101
	v_mov_b32_e32 v19, v81
	v_pk_add_f32 v[0:1], v[74:75], v[0:1]
	v_accvgpr_read_b32 v81, a15
	v_pk_add_f32 v[2:3], v[134:135], v[2:3]
	v_mov_b32_e32 v139, v11
	v_pk_add_f32 v[4:5], v[102:103], v[4:5]
	v_mov_b32_e32 v107, v105
	v_mov_b32_e32 v27, v87
	v_pk_add_f32 v[0:1], v[80:81], v[0:1]
	v_accvgpr_read_b32 v87, a17
	v_pk_add_f32 v[2:3], v[138:139], v[2:3]
	v_pk_add_f32 v[4:5], v[106:107], v[4:5]
	v_mov_b32_e32 v31, v89
	v_pk_add_f32 v[0:1], v[86:87], v[0:1]
	v_accvgpr_read_b32 v89, a21
	ds_write2_b64 v115, v[2:3], v[4:5] offset0:84 offset1:91
	v_pk_add_f32 v[4:5], v[184:185], v[8:9]
	v_pk_add_f32 v[0:1], v[88:89], v[0:1]
	v_accvgpr_read_b32 v93, a23
	v_pk_add_f32 v[4:5], v[12:13], v[4:5]
	v_pk_add_f32 v[0:1], v[92:93], v[0:1]
	v_accvgpr_read_b32 v169, a25
	v_accvgpr_read_b32 v17, a3
	v_pk_add_f32 v[4:5], v[18:19], v[4:5]
	v_mov_b32_e32 v23, v83
	v_pk_add_f32 v[0:1], v[168:169], v[0:1]
	v_accvgpr_read_b32 v83, a27
	v_accvgpr_read_b32 v42, a128
	v_accvgpr_read_b32 v16, a2
	v_accvgpr_read_b32 v19, a9
	v_accvgpr_read_b32 v44, a130
	v_accvgpr_read_b32 v45, a131
	v_pk_mul_f32 v[16:17], v[16:17], v[250:251]
	v_accvgpr_read_b32 v18, a8
	v_accvgpr_read_b32 v21, a5
	;; [unrolled: 1-line block ×3, first 2 shown]
	v_pk_add_f32 v[0:1], v[82:83], v[0:1]
	v_accvgpr_read_b32 v50, a220
	v_pk_mul_f32 v[18:19], v[18:19], v[246:247]
	v_accvgpr_read_b32 v20, a4
	v_accvgpr_read_b32 v54, a38
	ds_write_b64 v115, v[0:1] offset:896
	v_pk_fma_f32 v[60:61], v[44:45], v[250:251], v[16:17] op_sel:[0,0,1] op_sel_hi:[1,1,0]
	v_pk_fma_f32 v[0:1], v[44:45], v[250:251], v[16:17] op_sel:[0,0,1] op_sel_hi:[1,1,0] neg_lo:[0,0,1] neg_hi:[0,0,1]
	v_accvgpr_read_b32 v51, a221
	v_accvgpr_read_b32 v45, a39
	v_pk_add_f32 v[4:5], v[22:23], v[4:5]
	v_pk_mul_f32 v[20:21], v[20:21], v[54:55]
	v_accvgpr_read_b32 v23, a7
	v_mov_b32_e32 v61, v1
	v_accvgpr_read_b32 v52, a222
	v_accvgpr_read_b32 v53, a223
	v_pk_fma_f32 v[16:17], v[50:51], v[246:247], v[18:19] op_sel:[0,0,1] op_sel_hi:[1,1,0]
	v_pk_fma_f32 v[0:1], v[50:51], v[246:247], v[18:19] op_sel:[0,0,1] op_sel_hi:[1,1,0] neg_lo:[0,0,1] neg_hi:[0,0,1]
	v_accvgpr_read_b32 v44, a38
	v_mov_b32_e32 v183, v189
	v_accvgpr_read_b32 v22, a6
	v_accvgpr_read_b32 v24, a48
	v_mov_b32_e32 v17, v1
	v_pk_fma_f32 v[18:19], v[52:53], v[44:45], v[20:21] op_sel:[0,0,1] op_sel_hi:[1,1,0]
	v_pk_fma_f32 v[0:1], v[52:53], v[44:45], v[20:21] op_sel:[0,0,1] op_sel_hi:[1,1,0] neg_lo:[0,0,1] neg_hi:[0,0,1]
	v_accvgpr_read_b32 v50, a208
	v_mov_b32_e32 v193, v197
	v_pk_add_f32 v[2:3], v[184:185], v[182:183]
	v_pk_mul_f32 v[22:23], v[22:23], v[238:239]
	v_accvgpr_read_b32 v25, a49
	v_accvgpr_read_b32 v51, a209
	v_pk_add_f32 v[2:3], v[192:193], v[2:3]
	v_mov_b32_e32 v205, v201
	v_pk_add_f32 v[4:5], v[26:27], v[4:5]
	v_pk_mul_f32 v[24:25], v[24:25], v[234:235]
	v_accvgpr_read_b32 v26, a44
	v_accvgpr_read_b32 v58, a80
	v_mov_b32_e32 v19, v1
	v_accvgpr_read_b32 v52, a210
	v_accvgpr_read_b32 v53, a211
	v_pk_fma_f32 v[20:21], v[50:51], v[238:239], v[22:23] op_sel:[0,0,1] op_sel_hi:[1,1,0]
	v_pk_fma_f32 v[0:1], v[50:51], v[238:239], v[22:23] op_sel:[0,0,1] op_sel_hi:[1,1,0] neg_lo:[0,0,1] neg_hi:[0,0,1]
	v_pk_add_f32 v[2:3], v[204:205], v[2:3]
	v_mov_b32_e32 v213, v209
	v_accvgpr_read_b32 v27, a45
	v_accvgpr_read_b32 v59, a81
	v_mov_b32_e32 v21, v1
	v_pk_fma_f32 v[22:23], v[52:53], v[234:235], v[24:25] op_sel:[0,0,1] op_sel_hi:[1,1,0]
	v_pk_fma_f32 v[0:1], v[52:53], v[234:235], v[24:25] op_sel:[0,0,1] op_sel_hi:[1,1,0] neg_lo:[0,0,1] neg_hi:[0,0,1]
	v_accvgpr_read_b32 v50, a204
	v_accvgpr_read_b32 v44, a80
	v_pk_add_f32 v[2:3], v[212:213], v[2:3]
	v_mov_b32_e32 v225, v221
	v_mov_b32_e32 v249, v29
	v_pk_mul_f32 v[26:27], v[26:27], v[58:59]
	v_accvgpr_read_b32 v28, a40
	v_accvgpr_read_b32 v56, a82
	v_accvgpr_read_b32 v51, a205
	v_accvgpr_read_b32 v45, a81
	v_pk_add_f32 v[2:3], v[224:225], v[2:3]
	v_mov_b32_e32 v237, v77
	v_accvgpr_read_b32 v29, a41
	v_accvgpr_read_b32 v57, a83
	v_mov_b32_e32 v23, v1
	v_pk_fma_f32 v[24:25], v[50:51], v[44:45], v[26:27] op_sel:[0,0,1] op_sel_hi:[1,1,0]
	v_pk_fma_f32 v[0:1], v[50:51], v[44:45], v[26:27] op_sel:[0,0,1] op_sel_hi:[1,1,0] neg_lo:[0,0,1] neg_hi:[0,0,1]
	v_accvgpr_read_b32 v44, a82
	v_pk_add_f32 v[2:3], v[236:237], v[2:3]
	v_pk_add_f32 v[4:5], v[30:31], v[4:5]
	v_pk_mul_f32 v[28:29], v[28:29], v[56:57]
	v_accvgpr_read_b32 v30, a54
	v_accvgpr_read_b32 v65, a31
	;; [unrolled: 1-line block ×5, first 2 shown]
	v_pk_add_f32 v[2:3], v[248:249], v[2:3]
	v_mov_b32_e32 v39, v35
	v_accvgpr_read_b32 v31, a55
	v_accvgpr_read_b32 v64, a30
	;; [unrolled: 1-line block ×3, first 2 shown]
	v_mov_b32_e32 v25, v1
	v_pk_fma_f32 v[26:27], v[52:53], v[44:45], v[28:29] op_sel:[0,0,1] op_sel_hi:[1,1,0]
	v_pk_fma_f32 v[0:1], v[52:53], v[44:45], v[28:29] op_sel:[0,0,1] op_sel_hi:[1,1,0] neg_lo:[0,0,1] neg_hi:[0,0,1]
	v_accvgpr_read_b32 v50, a192
	v_accvgpr_read_b32 v45, a31
	v_pk_add_f32 v[2:3], v[38:39], v[2:3]
	v_accvgpr_read_b32 v38, a120
	v_pk_mul_f32 v[30:31], v[30:31], v[64:65]
	v_accvgpr_read_b32 v33, a35
	v_accvgpr_read_b32 v51, a193
	;; [unrolled: 1-line block ×4, first 2 shown]
	v_pk_mul_f32 v[32:33], v[32:33], v[244:245]
	v_mov_b32_e32 v27, v1
	v_accvgpr_read_b32 v52, a194
	v_accvgpr_read_b32 v53, a195
	v_pk_fma_f32 v[28:29], v[50:51], v[44:45], v[30:31] op_sel:[0,0,1] op_sel_hi:[1,1,0]
	v_pk_fma_f32 v[0:1], v[50:51], v[44:45], v[30:31] op_sel:[0,0,1] op_sel_hi:[1,1,0] neg_lo:[0,0,1] neg_hi:[0,0,1]
	v_pk_mul_f32 v[6:7], v[38:39], v[232:233] op_sel:[1,0]
	v_mov_b32_e32 v29, v1
	v_pk_fma_f32 v[0:1], v[52:53], v[244:245], v[32:33] op_sel:[0,0,1] op_sel_hi:[1,1,0]
	v_pk_fma_f32 v[30:31], v[52:53], v[244:245], v[32:33] op_sel:[0,0,1] op_sel_hi:[1,1,0] neg_lo:[0,0,1] neg_hi:[0,0,1]
	v_accvgpr_read_b32 v62, a164
	v_mov_b32_e32 v1, v31
	v_pk_fma_f32 v[30:31], v[38:39], v[232:233], v[6:7] op_sel:[0,0,1] op_sel_hi:[1,1,0]
	v_pk_fma_f32 v[6:7], v[38:39], v[232:233], v[6:7] op_sel:[0,0,1] op_sel_hi:[0,1,0] neg_lo:[0,0,1] neg_hi:[0,0,1]
	v_accvgpr_read_b32 v40, a122
	v_accvgpr_read_b32 v41, a123
	v_accvgpr_read_b32 v63, a165
	v_mov_b32_e32 v31, v7
	v_accvgpr_read_b32 v6, a164
	v_pk_mul_f32 v[8:9], v[40:41], v[62:63] op_sel:[1,0]
	v_accvgpr_read_b32 v7, a165
	v_accvgpr_read_b32 v46, a132
	;; [unrolled: 1-line block ×3, first 2 shown]
	v_pk_fma_f32 v[50:51], v[40:41], v[6:7], v[8:9] op_sel:[0,0,1] op_sel_hi:[1,1,0]
	v_pk_fma_f32 v[6:7], v[40:41], v[6:7], v[8:9] op_sel:[0,0,1] op_sel_hi:[0,1,0] neg_lo:[0,0,1] neg_hi:[0,0,1]
	v_accvgpr_read_b32 v47, a133
	v_accvgpr_read_b32 v67, a161
	v_mov_b32_e32 v51, v7
	v_accvgpr_read_b32 v6, a160
	v_accvgpr_read_b32 v48, a134
	;; [unrolled: 1-line block ×3, first 2 shown]
	v_pk_mul_f32 v[10:11], v[46:47], v[66:67] op_sel:[1,0]
	v_accvgpr_read_b32 v7, a161
	v_pk_mul_f32 v[12:13], v[48:49], v[230:231] op_sel:[1,0]
	v_pk_fma_f32 v[8:9], v[46:47], v[6:7], v[10:11] op_sel:[0,0,1] op_sel_hi:[1,1,0]
	v_pk_fma_f32 v[6:7], v[46:47], v[6:7], v[10:11] op_sel:[0,0,1] op_sel_hi:[0,1,0] neg_lo:[0,0,1] neg_hi:[0,0,1]
	v_accvgpr_read_b32 v68, a162
	v_mov_b32_e32 v9, v7
	v_pk_fma_f32 v[10:11], v[48:49], v[230:231], v[12:13] op_sel:[0,0,1] op_sel_hi:[1,1,0]
	v_pk_fma_f32 v[6:7], v[48:49], v[230:231], v[12:13] op_sel:[0,0,1] op_sel_hi:[0,1,0] neg_lo:[0,0,1] neg_hi:[0,0,1]
	v_mov_b32_e32 v177, v173
	v_accvgpr_read_b32 v43, a129
	v_accvgpr_read_b32 v69, a163
	v_mov_b32_e32 v11, v7
	v_accvgpr_read_b32 v6, a162
	v_pk_add_f32 v[4:5], v[176:177], v[4:5]
	v_mov_b32_e32 v181, v85
	v_accvgpr_read_b32 v34, a116
	v_accvgpr_read_b32 v70, a166
	v_pk_mul_f32 v[14:15], v[42:43], v[68:69] op_sel:[1,0]
	v_accvgpr_read_b32 v7, a163
	v_pk_add_f32 v[4:5], v[180:181], v[4:5]
	v_accvgpr_read_b32 v35, a117
	v_accvgpr_read_b32 v71, a167
	v_pk_fma_f32 v[12:13], v[42:43], v[6:7], v[14:15] op_sel:[0,0,1] op_sel_hi:[1,1,0]
	v_pk_fma_f32 v[6:7], v[42:43], v[6:7], v[14:15] op_sel:[0,0,1] op_sel_hi:[0,1,0] neg_lo:[0,0,1] neg_hi:[0,0,1]
	v_accvgpr_read_b32 v14, a166
	ds_write2_b64 v115, v[2:3], v[4:5] offset0:98 offset1:105
	v_accvgpr_read_b32 v36, a118
	v_accvgpr_read_b32 v37, a119
	v_pk_mul_f32 v[2:3], v[34:35], v[70:71] op_sel:[1,0]
	v_accvgpr_read_b32 v15, a167
	v_pk_mul_f32 v[4:5], v[36:37], v[242:243] op_sel:[1,0]
	v_mov_b32_e32 v13, v7
	v_pk_fma_f32 v[6:7], v[34:35], v[14:15], v[2:3] op_sel:[0,0,1] op_sel_hi:[1,1,0]
	v_pk_fma_f32 v[2:3], v[34:35], v[14:15], v[2:3] op_sel:[0,0,1] op_sel_hi:[0,1,0] neg_lo:[0,0,1] neg_hi:[0,0,1]
	v_mov_b32_e32 v7, v3
	v_pk_fma_f32 v[2:3], v[36:37], v[242:243], v[4:5] op_sel:[0,0,1] op_sel_hi:[1,1,0]
	v_pk_fma_f32 v[4:5], v[36:37], v[242:243], v[4:5] op_sel:[0,0,1] op_sel_hi:[0,1,0] neg_lo:[0,0,1] neg_hi:[0,0,1]
	v_mov_b32_e32 v3, v5
	v_pk_add_f32 v[4:5], v[186:187], v[6:7]
	v_pk_add_f32 v[4:5], v[4:5], v[2:3]
	;; [unrolled: 1-line block ×13, first 2 shown]
	v_pk_add_f32 v[38:39], v[6:7], v[0:1] neg_lo:[0,1] neg_hi:[0,1]
	v_pk_add_f32 v[4:5], v[4:5], v[26:27]
	v_pk_add_f32 v[32:33], v[6:7], v[0:1]
	v_pk_mul_f32 v[6:7], v[38:39], s[18:19] op_sel_hi:[1,0]
	v_pk_add_f32 v[66:67], v[2:3], v[28:29] neg_lo:[0,1] neg_hi:[0,1]
	v_pk_add_f32 v[4:5], v[4:5], v[28:29]
	v_pk_fma_f32 v[14:15], v[32:33], s[12:13], v[6:7] op_sel:[0,0,1] op_sel_hi:[1,0,0]
	v_pk_fma_f32 v[40:41], v[32:33], s[12:13], v[6:7] op_sel:[0,0,1] op_sel_hi:[1,0,0] neg_lo:[0,0,1] neg_hi:[0,0,1]
	v_pk_add_f32 v[36:37], v[2:3], v[28:29]
	v_pk_mul_f32 v[2:3], v[66:67], s[30:31] op_sel_hi:[1,0]
	v_pk_add_f32 v[4:5], v[4:5], v[0:1]
	v_accvgpr_write_b32 a3, v15
	v_mov_b32_e32 v15, v41
	v_pk_fma_f32 v[0:1], v[36:37], s[0:1], v[2:3] op_sel:[0,0,1] op_sel_hi:[1,0,0]
	v_pk_fma_f32 v[42:43], v[36:37], s[0:1], v[2:3] op_sel:[0,0,1] op_sel_hi:[1,0,0] neg_lo:[0,0,1] neg_hi:[0,0,1]
	v_pk_add_f32 v[14:15], v[186:187], v[14:15]
	v_mov_b32_e32 v2, v0
	v_mov_b32_e32 v3, v43
	v_pk_add_f32 v[64:65], v[30:31], v[26:27] neg_lo:[0,1] neg_hi:[0,1]
	v_pk_add_f32 v[2:3], v[2:3], v[14:15]
	v_pk_add_f32 v[34:35], v[30:31], v[26:27]
	v_pk_mul_f32 v[14:15], v[64:65], s[42:43] op_sel_hi:[1,0]
	v_accvgpr_write_b32 a5, v1
	v_pk_fma_f32 v[0:1], v[34:35], s[2:3], v[14:15] op_sel:[0,0,1] op_sel_hi:[1,0,0]
	v_pk_fma_f32 v[46:47], v[34:35], s[2:3], v[14:15] op_sel:[0,0,1] op_sel_hi:[1,0,0] neg_lo:[0,0,1] neg_hi:[0,0,1]
	v_mov_b32_e32 v14, v0
	v_mov_b32_e32 v15, v47
	v_pk_add_f32 v[216:217], v[50:51], v[24:25] neg_lo:[0,1] neg_hi:[0,1]
	v_pk_add_f32 v[2:3], v[14:15], v[2:3]
	v_pk_add_f32 v[48:49], v[50:51], v[24:25]
	v_pk_mul_f32 v[14:15], v[216:217], s[28:29] op_sel_hi:[1,0]
	v_pk_add_f32 v[220:221], v[8:9], v[22:23] neg_lo:[0,1] neg_hi:[0,1]
	v_accvgpr_write_b32 a7, v1
	v_pk_fma_f32 v[0:1], v[48:49], s[8:9], v[14:15] op_sel:[0,0,1] op_sel_hi:[1,0,0]
	v_pk_fma_f32 v[54:55], v[48:49], s[8:9], v[14:15] op_sel:[0,0,1] op_sel_hi:[1,0,0] neg_lo:[0,0,1] neg_hi:[0,0,1]
	v_pk_add_f32 v[68:69], v[8:9], v[22:23]
	v_pk_mul_f32 v[8:9], v[220:221], s[16:17] op_sel_hi:[1,0]
	v_mov_b32_e32 v14, v0
	v_accvgpr_write_b32 a9, v1
	v_mov_b32_e32 v15, v55
	v_pk_fma_f32 v[0:1], v[68:69], s[14:15], v[8:9] op_sel:[0,0,1] op_sel_hi:[1,0,0]
	v_pk_fma_f32 v[58:59], v[68:69], s[14:15], v[8:9] op_sel:[0,0,1] op_sel_hi:[1,0,0] neg_lo:[0,0,1] neg_hi:[0,0,1]
	v_pk_add_f32 v[2:3], v[14:15], v[2:3]
	v_mov_b32_e32 v8, v0
	v_mov_b32_e32 v9, v59
	v_pk_add_f32 v[70:71], v[10:11], v[20:21] neg_lo:[0,1] neg_hi:[0,1]
	v_pk_add_f32 v[2:3], v[8:9], v[2:3]
	v_pk_add_f32 v[218:219], v[10:11], v[20:21]
	v_pk_mul_f32 v[8:9], v[70:71], s[22:23] op_sel_hi:[1,0]
	v_pk_fma_f32 v[74:75], v[218:219], s[20:21], v[8:9] op_sel:[0,0,1] op_sel_hi:[1,0,0]
	v_pk_fma_f32 v[76:77], v[218:219], s[20:21], v[8:9] op_sel:[0,0,1] op_sel_hi:[1,0,0] neg_lo:[0,0,1] neg_hi:[0,0,1]
	v_mov_b32_e32 v8, v74
	v_mov_b32_e32 v9, v77
	v_pk_add_f32 v[50:51], v[12:13], v[18:19] neg_lo:[0,1] neg_hi:[0,1]
	v_pk_add_f32 v[2:3], v[8:9], v[2:3]
	v_pk_add_f32 v[222:223], v[12:13], v[18:19]
	v_pk_mul_f32 v[8:9], v[50:51], s[26:27] op_sel_hi:[1,0]
	v_pk_fma_f32 v[136:137], v[222:223], s[24:25], v[8:9] op_sel:[0,0,1] op_sel_hi:[1,0,0]
	v_pk_fma_f32 v[80:81], v[222:223], s[24:25], v[8:9] op_sel:[0,0,1] op_sel_hi:[1,0,0] neg_lo:[0,0,1] neg_hi:[0,0,1]
	v_mov_b32_e32 v8, v136
	v_mov_b32_e32 v9, v81
	v_pk_add_f32 v[224:225], v[60:61], v[16:17]
	v_pk_add_f32 v[60:61], v[60:61], v[16:17] neg_lo:[0,1] neg_hi:[0,1]
	v_pk_add_f32 v[2:3], v[8:9], v[2:3]
	v_pk_mul_f32 v[8:9], v[60:61], s[36:37] op_sel_hi:[1,0]
	v_pk_fma_f32 v[82:83], v[224:225], s[34:35], v[8:9] op_sel:[0,0,1] op_sel_hi:[1,0,0]
	v_pk_fma_f32 v[84:85], v[224:225], s[34:35], v[8:9] op_sel:[0,0,1] op_sel_hi:[1,0,0] neg_lo:[0,0,1] neg_hi:[0,0,1]
	v_mov_b32_e32 v8, v82
	v_mov_b32_e32 v9, v85
	v_pk_add_f32 v[2:3], v[8:9], v[2:3]
	v_accvgpr_read_b32 v74, a177
	ds_write2_b64 v74, v[4:5], v[2:3] offset1:7
	v_pk_mul_f32 v[2:3], v[38:39], s[30:31] op_sel_hi:[1,0]
	v_pk_mul_f32 v[8:9], v[38:39], s[42:43] op_sel_hi:[1,0]
	v_pk_fma_f32 v[86:87], v[32:33], s[0:1], v[2:3] op_sel:[0,0,1] op_sel_hi:[1,0,0]
	v_pk_fma_f32 v[88:89], v[32:33], s[0:1], v[2:3] op_sel:[0,0,1] op_sel_hi:[1,0,0] neg_lo:[0,0,1] neg_hi:[0,0,1]
	v_pk_mul_f32 v[4:5], v[66:67], s[28:29] op_sel_hi:[1,0]
	v_pk_fma_f32 v[56:57], v[32:33], s[2:3], v[8:9] op_sel:[0,0,1] op_sel_hi:[1,0,0]
	v_pk_fma_f32 v[176:177], v[32:33], s[2:3], v[8:9] op_sel:[0,0,1] op_sel_hi:[1,0,0] neg_lo:[0,0,1] neg_hi:[0,0,1]
	v_pk_mul_f32 v[10:11], v[66:67], s[22:23] op_sel_hi:[1,0]
	v_mov_b32_e32 v2, v86
	v_mov_b32_e32 v3, v89
	v_pk_fma_f32 v[94:95], v[36:37], s[8:9], v[4:5] op_sel:[0,0,1] op_sel_hi:[1,0,0]
	v_pk_fma_f32 v[92:93], v[36:37], s[8:9], v[4:5] op_sel:[0,0,1] op_sel_hi:[1,0,0] neg_lo:[0,0,1] neg_hi:[0,0,1]
	v_mov_b32_e32 v8, v56
	v_mov_b32_e32 v9, v177
	v_pk_fma_f32 v[138:139], v[36:37], s[20:21], v[10:11] op_sel:[0,0,1] op_sel_hi:[1,0,0]
	v_pk_fma_f32 v[180:181], v[36:37], s[20:21], v[10:11] op_sel:[0,0,1] op_sel_hi:[1,0,0] neg_lo:[0,0,1] neg_hi:[0,0,1]
	v_pk_add_f32 v[2:3], v[186:187], v[2:3]
	v_mov_b32_e32 v4, v94
	v_mov_b32_e32 v5, v93
	v_pk_add_f32 v[8:9], v[186:187], v[8:9]
	v_mov_b32_e32 v10, v138
	v_mov_b32_e32 v11, v181
	v_pk_add_f32 v[2:3], v[4:5], v[2:3]
	v_pk_mul_f32 v[4:5], v[64:65], s[22:23] op_sel_hi:[1,0]
	v_pk_add_f32 v[8:9], v[10:11], v[8:9]
	v_pk_mul_f32 v[10:11], v[64:65], s[54:55] op_sel_hi:[1,0]
	v_pk_fma_f32 v[78:79], v[34:35], s[20:21], v[4:5] op_sel:[0,0,1] op_sel_hi:[1,0,0]
	v_pk_fma_f32 v[116:117], v[34:35], s[20:21], v[4:5] op_sel:[0,0,1] op_sel_hi:[1,0,0] neg_lo:[0,0,1] neg_hi:[0,0,1]
	v_pk_fma_f32 v[182:183], v[34:35], s[34:35], v[10:11] op_sel:[0,0,1] op_sel_hi:[1,0,0]
	v_pk_fma_f32 v[184:185], v[34:35], s[34:35], v[10:11] op_sel:[0,0,1] op_sel_hi:[1,0,0] neg_lo:[0,0,1] neg_hi:[0,0,1]
	v_mov_b32_e32 v4, v78
	v_mov_b32_e32 v5, v117
	v_mov_b32_e32 v10, v182
	v_mov_b32_e32 v11, v185
	v_pk_add_f32 v[2:3], v[4:5], v[2:3]
	v_pk_mul_f32 v[4:5], v[216:217], s[36:37] op_sel_hi:[1,0]
	v_pk_add_f32 v[8:9], v[10:11], v[8:9]
	v_pk_mul_f32 v[10:11], v[216:217], s[46:47] op_sel_hi:[1,0]
	v_pk_fma_f32 v[118:119], v[48:49], s[34:35], v[4:5] op_sel:[0,0,1] op_sel_hi:[1,0,0]
	v_pk_fma_f32 v[128:129], v[48:49], s[34:35], v[4:5] op_sel:[0,0,1] op_sel_hi:[1,0,0] neg_lo:[0,0,1] neg_hi:[0,0,1]
	v_pk_fma_f32 v[188:189], v[48:49], s[14:15], v[10:11] op_sel:[0,0,1] op_sel_hi:[1,0,0]
	v_pk_fma_f32 v[190:191], v[48:49], s[14:15], v[10:11] op_sel:[0,0,1] op_sel_hi:[1,0,0] neg_lo:[0,0,1] neg_hi:[0,0,1]
	v_mov_b32_e32 v4, v118
	v_mov_b32_e32 v5, v129
	;; [unrolled: 12-line block ×6, first 2 shown]
	v_mov_b32_e32 v10, v204
	v_mov_b32_e32 v11, v207
	v_pk_add_f32 v[4:5], v[4:5], v[2:3]
	v_pk_add_f32 v[8:9], v[10:11], v[8:9]
	ds_write2_b64 v74, v[4:5], v[8:9] offset0:14 offset1:21
	v_pk_mul_f32 v[4:5], v[38:39], s[28:29] op_sel_hi:[1,0]
	v_pk_fma_f32 v[30:31], v[32:33], s[8:9], v[4:5] op_sel:[0,0,1] op_sel_hi:[1,0,0]
	v_pk_fma_f32 v[28:29], v[32:33], s[8:9], v[4:5] op_sel:[0,0,1] op_sel_hi:[1,0,0] neg_lo:[0,0,1] neg_hi:[0,0,1]
	v_pk_mul_f32 v[8:9], v[66:67], s[36:37] op_sel_hi:[1,0]
	v_mov_b32_e32 v4, v30
	v_mov_b32_e32 v5, v29
	v_pk_fma_f32 v[214:215], v[36:37], s[34:35], v[8:9] op_sel:[0,0,1] op_sel_hi:[1,0,0]
	v_pk_fma_f32 v[26:27], v[36:37], s[34:35], v[8:9] op_sel:[0,0,1] op_sel_hi:[1,0,0] neg_lo:[0,0,1] neg_hi:[0,0,1]
	v_pk_add_f32 v[4:5], v[186:187], v[4:5]
	v_mov_b32_e32 v8, v214
	v_mov_b32_e32 v9, v27
	v_pk_add_f32 v[4:5], v[8:9], v[4:5]
	v_pk_mul_f32 v[8:9], v[64:65], s[46:47] op_sel_hi:[1,0]
	v_pk_fma_f32 v[16:17], v[34:35], s[14:15], v[8:9] op_sel:[0,0,1] op_sel_hi:[1,0,0]
	v_pk_fma_f32 v[208:209], v[34:35], s[14:15], v[8:9] op_sel:[0,0,1] op_sel_hi:[1,0,0] neg_lo:[0,0,1] neg_hi:[0,0,1]
	v_mov_b32_e32 v8, v16
	v_mov_b32_e32 v9, v209
	v_pk_add_f32 v[4:5], v[8:9], v[4:5]
	v_pk_mul_f32 v[8:9], v[216:217], s[40:41] op_sel_hi:[1,0]
	v_pk_fma_f32 v[210:211], v[48:49], s[12:13], v[8:9] op_sel:[0,0,1] op_sel_hi:[1,0,0]
	v_pk_fma_f32 v[212:213], v[48:49], s[12:13], v[8:9] op_sel:[0,0,1] op_sel_hi:[1,0,0] neg_lo:[0,0,1] neg_hi:[0,0,1]
	v_pk_mul_f32 v[10:11], v[220:221], s[42:43] op_sel_hi:[1,0]
	v_mov_b32_e32 v8, v210
	v_mov_b32_e32 v9, v213
	v_pk_fma_f32 v[52:53], v[68:69], s[2:3], v[10:11] op_sel:[0,0,1] op_sel_hi:[1,0,0]
	v_pk_fma_f32 v[10:11], v[68:69], s[2:3], v[10:11] op_sel:[0,0,1] op_sel_hi:[1,0,0] neg_lo:[0,0,1] neg_hi:[0,0,1]
	v_pk_mul_f32 v[14:15], v[70:71], s[26:27] op_sel_hi:[1,0]
	v_pk_add_f32 v[4:5], v[8:9], v[4:5]
	v_mov_b32_e32 v12, v52
	v_mov_b32_e32 v13, v11
	v_pk_fma_f32 v[44:45], v[218:219], s[24:25], v[14:15] op_sel:[0,0,1] op_sel_hi:[1,0,0]
	v_pk_fma_f32 v[14:15], v[218:219], s[24:25], v[14:15] op_sel:[0,0,1] op_sel_hi:[1,0,0] neg_lo:[0,0,1] neg_hi:[0,0,1]
	v_pk_add_f32 v[4:5], v[12:13], v[4:5]
	v_mov_b32_e32 v18, v44
	v_mov_b32_e32 v19, v15
	v_pk_mul_f32 v[20:21], v[50:51], s[52:53] op_sel_hi:[1,0]
	v_pk_add_f32 v[4:5], v[18:19], v[4:5]
	v_pk_fma_f32 v[18:19], v[222:223], s[20:21], v[20:21] op_sel:[0,0,1] op_sel_hi:[1,0,0]
	v_pk_fma_f32 v[20:21], v[222:223], s[20:21], v[20:21] op_sel:[0,0,1] op_sel_hi:[1,0,0] neg_lo:[0,0,1] neg_hi:[0,0,1]
	v_mov_b32_e32 v22, v18
	v_mov_b32_e32 v23, v21
	v_pk_mul_f32 v[24:25], v[60:61], s[44:45] op_sel_hi:[1,0]
	v_pk_add_f32 v[4:5], v[22:23], v[4:5]
	v_pk_fma_f32 v[22:23], v[224:225], s[0:1], v[24:25] op_sel:[0,0,1] op_sel_hi:[1,0,0]
	v_pk_fma_f32 v[24:25], v[224:225], s[0:1], v[24:25] op_sel:[0,0,1] op_sel_hi:[1,0,0] neg_lo:[0,0,1] neg_hi:[0,0,1]
	v_mov_b32_e32 v62, v22
	v_mov_b32_e32 v63, v25
	v_pk_add_f32 v[140:141], v[62:63], v[4:5]
	v_pk_mul_f32 v[4:5], v[38:39], s[16:17] op_sel_hi:[1,0]
	v_pk_fma_f32 v[96:97], v[32:33], s[14:15], v[4:5] op_sel:[0,0,1] op_sel_hi:[1,0,0]
	v_pk_fma_f32 v[72:73], v[32:33], s[14:15], v[4:5] op_sel:[0,0,1] op_sel_hi:[1,0,0] neg_lo:[0,0,1] neg_hi:[0,0,1]
	v_pk_mul_f32 v[62:63], v[66:67], s[50:51] op_sel_hi:[1,0]
	v_mov_b32_e32 v4, v96
	v_mov_b32_e32 v5, v73
	v_pk_fma_f32 v[100:101], v[36:37], s[24:25], v[62:63] op_sel:[0,0,1] op_sel_hi:[1,0,0]
	v_pk_fma_f32 v[98:99], v[36:37], s[24:25], v[62:63] op_sel:[0,0,1] op_sel_hi:[1,0,0] neg_lo:[0,0,1] neg_hi:[0,0,1]
	v_pk_add_f32 v[4:5], v[186:187], v[4:5]
	v_mov_b32_e32 v62, v100
	v_mov_b32_e32 v63, v99
	v_pk_add_f32 v[4:5], v[62:63], v[4:5]
	v_pk_mul_f32 v[62:63], v[64:65], s[44:45] op_sel_hi:[1,0]
	v_pk_fma_f32 v[102:103], v[34:35], s[0:1], v[62:63] op_sel:[0,0,1] op_sel_hi:[1,0,0]
	v_pk_fma_f32 v[104:105], v[34:35], s[0:1], v[62:63] op_sel:[0,0,1] op_sel_hi:[1,0,0] neg_lo:[0,0,1] neg_hi:[0,0,1]
	v_mov_b32_e32 v62, v102
	v_mov_b32_e32 v63, v105
	v_pk_add_f32 v[4:5], v[62:63], v[4:5]
	v_pk_mul_f32 v[62:63], v[216:217], s[42:43] op_sel_hi:[1,0]
	v_pk_fma_f32 v[106:107], v[48:49], s[2:3], v[62:63] op_sel:[0,0,1] op_sel_hi:[1,0,0]
	v_pk_fma_f32 v[108:109], v[48:49], s[2:3], v[62:63] op_sel:[0,0,1] op_sel_hi:[1,0,0] neg_lo:[0,0,1] neg_hi:[0,0,1]
	;; [unrolled: 6-line block ×6, first 2 shown]
	v_mov_b32_e32 v146, v62
	v_mov_b32_e32 v147, v5
	v_pk_add_f32 v[142:143], v[146:147], v[142:143]
	ds_write2_b64 v74, v[140:141], v[142:143] offset0:28 offset1:35
	v_pk_mul_f32 v[140:141], v[38:39], s[22:23] op_sel_hi:[1,0]
	v_pk_fma_f32 v[142:143], v[32:33], s[20:21], v[140:141] op_sel:[0,0,1] op_sel_hi:[1,0,0]
	v_pk_fma_f32 v[140:141], v[32:33], s[20:21], v[140:141] op_sel:[0,0,1] op_sel_hi:[1,0,0] neg_lo:[0,0,1] neg_hi:[0,0,1]
	v_pk_mul_f32 v[148:149], v[66:67], s[46:47] op_sel_hi:[1,0]
	v_mov_b32_e32 v146, v142
	v_mov_b32_e32 v147, v141
	v_pk_fma_f32 v[150:151], v[36:37], s[14:15], v[148:149] op_sel:[0,0,1] op_sel_hi:[1,0,0]
	v_pk_fma_f32 v[148:149], v[36:37], s[14:15], v[148:149] op_sel:[0,0,1] op_sel_hi:[1,0,0] neg_lo:[0,0,1] neg_hi:[0,0,1]
	v_pk_add_f32 v[146:147], v[186:187], v[146:147]
	v_mov_b32_e32 v152, v150
	v_mov_b32_e32 v153, v149
	v_pk_add_f32 v[146:147], v[152:153], v[146:147]
	v_pk_mul_f32 v[152:153], v[64:65], s[18:19] op_sel_hi:[1,0]
	v_pk_fma_f32 v[154:155], v[34:35], s[12:13], v[152:153] op_sel:[0,0,1] op_sel_hi:[1,0,0]
	v_pk_fma_f32 v[152:153], v[34:35], s[12:13], v[152:153] op_sel:[0,0,1] op_sel_hi:[1,0,0] neg_lo:[0,0,1] neg_hi:[0,0,1]
	v_mov_b32_e32 v156, v154
	v_mov_b32_e32 v157, v153
	v_pk_add_f32 v[146:147], v[156:157], v[146:147]
	v_pk_mul_f32 v[156:157], v[216:217], s[26:27] op_sel_hi:[1,0]
	v_pk_fma_f32 v[158:159], v[48:49], s[24:25], v[156:157] op_sel:[0,0,1] op_sel_hi:[1,0,0]
	v_pk_fma_f32 v[156:157], v[48:49], s[24:25], v[156:157] op_sel:[0,0,1] op_sel_hi:[1,0,0] neg_lo:[0,0,1] neg_hi:[0,0,1]
	;; [unrolled: 6-line block ×7, first 2 shown]
	v_pk_mul_f32 v[234:235], v[66:67], s[38:39] op_sel_hi:[1,0]
	v_mov_b32_e32 v232, v230
	v_mov_b32_e32 v233, v229
	v_pk_fma_f32 v[236:237], v[36:37], s[2:3], v[234:235] op_sel:[0,0,1] op_sel_hi:[1,0,0]
	v_pk_fma_f32 v[234:235], v[36:37], s[2:3], v[234:235] op_sel:[0,0,1] op_sel_hi:[1,0,0] neg_lo:[0,0,1] neg_hi:[0,0,1]
	v_pk_add_f32 v[232:233], v[186:187], v[232:233]
	v_mov_b32_e32 v238, v236
	v_mov_b32_e32 v239, v235
	v_pk_add_f32 v[232:233], v[238:239], v[232:233]
	v_pk_mul_f32 v[238:239], v[64:65], s[28:29] op_sel_hi:[1,0]
	v_pk_fma_f32 v[240:241], v[34:35], s[8:9], v[238:239] op_sel:[0,0,1] op_sel_hi:[1,0,0]
	v_pk_fma_f32 v[238:239], v[34:35], s[8:9], v[238:239] op_sel:[0,0,1] op_sel_hi:[1,0,0] neg_lo:[0,0,1] neg_hi:[0,0,1]
	v_mov_b32_e32 v242, v240
	v_mov_b32_e32 v243, v239
	v_pk_add_f32 v[232:233], v[242:243], v[232:233]
	v_pk_mul_f32 v[242:243], v[216:217], s[52:53] op_sel_hi:[1,0]
	v_pk_fma_f32 v[244:245], v[48:49], s[20:21], v[242:243] op_sel:[0,0,1] op_sel_hi:[1,0,0]
	v_pk_fma_f32 v[242:243], v[48:49], s[20:21], v[242:243] op_sel:[0,0,1] op_sel_hi:[1,0,0] neg_lo:[0,0,1] neg_hi:[0,0,1]
	;; [unrolled: 6-line block ×5, first 2 shown]
	v_accvgpr_write_b32 a11, v1
	v_mov_b32_e32 v0, v8
	v_mov_b32_e32 v1, v255
	v_pk_add_f32 v[0:1], v[0:1], v[232:233]
	v_pk_mul_f32 v[232:233], v[60:61], s[16:17] op_sel_hi:[1,0]
	v_pk_fma_f32 v[6:7], v[224:225], s[14:15], v[232:233] op_sel:[0,0,1] op_sel_hi:[1,0,0]
	v_pk_fma_f32 v[232:233], v[224:225], s[14:15], v[232:233] op_sel:[0,0,1] op_sel_hi:[1,0,0] neg_lo:[0,0,1] neg_hi:[0,0,1]
	v_mov_b32_e32 v2, v6
	v_mov_b32_e32 v3, v233
	v_pk_add_f32 v[0:1], v[2:3], v[0:1]
	ds_write2_b64 v74, v[146:147], v[0:1] offset0:42 offset1:49
	v_pk_mul_f32 v[0:1], v[38:39], s[36:37] op_sel_hi:[1,0]
	v_pk_fma_f32 v[2:3], v[32:33], s[34:35], v[0:1] op_sel:[0,0,1] op_sel_hi:[1,0,0]
	v_pk_fma_f32 v[0:1], v[32:33], s[34:35], v[0:1] op_sel:[0,0,1] op_sel_hi:[1,0,0] neg_lo:[0,0,1] neg_hi:[0,0,1]
	v_pk_mul_f32 v[32:33], v[66:67], s[40:41] op_sel_hi:[1,0]
	v_pk_fma_f32 v[38:39], v[36:37], s[12:13], v[32:33] op_sel:[0,0,1] op_sel_hi:[1,0,0]
	v_pk_fma_f32 v[32:33], v[36:37], s[12:13], v[32:33] op_sel:[0,0,1] op_sel_hi:[1,0,0] neg_lo:[0,0,1] neg_hi:[0,0,1]
	v_mov_b32_e32 v36, v2
	v_mov_b32_e32 v37, v1
	v_pk_add_f32 v[36:37], v[186:187], v[36:37]
	v_mov_b32_e32 v66, v38
	v_mov_b32_e32 v67, v33
	v_pk_mul_f32 v[64:65], v[64:65], s[26:27] op_sel_hi:[1,0]
	v_pk_add_f32 v[36:37], v[66:67], v[36:37]
	v_pk_fma_f32 v[66:67], v[34:35], s[24:25], v[64:65] op_sel:[0,0,1] op_sel_hi:[1,0,0]
	v_pk_fma_f32 v[34:35], v[34:35], s[24:25], v[64:65] op_sel:[0,0,1] op_sel_hi:[1,0,0] neg_lo:[0,0,1] neg_hi:[0,0,1]
	v_mov_b32_e32 v64, v66
	v_mov_b32_e32 v65, v35
	v_pk_add_f32 v[36:37], v[64:65], v[36:37]
	v_pk_mul_f32 v[64:65], v[216:217], s[44:45] op_sel_hi:[1,0]
	v_pk_fma_f32 v[146:147], v[48:49], s[0:1], v[64:65] op_sel:[0,0,1] op_sel_hi:[1,0,0]
	v_pk_fma_f32 v[48:49], v[48:49], s[0:1], v[64:65] op_sel:[0,0,1] op_sel_hi:[1,0,0] neg_lo:[0,0,1] neg_hi:[0,0,1]
	v_mov_b32_e32 v64, v146
	v_mov_b32_e32 v65, v49
	v_pk_add_f32 v[36:37], v[64:65], v[36:37]
	v_pk_mul_f32 v[64:65], v[220:221], s[22:23] op_sel_hi:[1,0]
	v_pk_fma_f32 v[216:217], v[68:69], s[20:21], v[64:65] op_sel:[0,0,1] op_sel_hi:[1,0,0]
	v_pk_fma_f32 v[64:65], v[68:69], s[20:21], v[64:65] op_sel:[0,0,1] op_sel_hi:[1,0,0] neg_lo:[0,0,1] neg_hi:[0,0,1]
	v_mov_b32_e32 v68, v216
	v_mov_b32_e32 v69, v65
	;; [unrolled: 1-line block ×3, first 2 shown]
	v_pk_add_f32 v[36:37], v[68:69], v[36:37]
	v_pk_mul_f32 v[68:69], v[70:71], s[38:39] op_sel_hi:[1,0]
	v_mov_b32_e32 v33, v39
	v_pk_add_f32 v[0:1], v[186:187], v[0:1]
	v_pk_fma_f32 v[70:71], v[218:219], s[2:3], v[68:69] op_sel:[0,0,1] op_sel_hi:[1,0,0]
	v_pk_fma_f32 v[68:69], v[218:219], s[2:3], v[68:69] op_sel:[0,0,1] op_sel_hi:[1,0,0] neg_lo:[0,0,1] neg_hi:[0,0,1]
	v_pk_add_f32 v[0:1], v[32:33], v[0:1]
	v_mov_b32_e32 v35, v67
	v_mov_b32_e32 v218, v70
	;; [unrolled: 1-line block ×3, first 2 shown]
	v_pk_mul_f32 v[50:51], v[50:51], s[16:17] op_sel_hi:[1,0]
	v_pk_add_f32 v[0:1], v[34:35], v[0:1]
	v_mov_b32_e32 v49, v147
	v_pk_add_f32 v[36:37], v[218:219], v[36:37]
	v_pk_fma_f32 v[218:219], v[222:223], s[14:15], v[50:51] op_sel:[0,0,1] op_sel_hi:[1,0,0]
	v_pk_fma_f32 v[50:51], v[222:223], s[14:15], v[50:51] op_sel:[0,0,1] op_sel_hi:[1,0,0] neg_lo:[0,0,1] neg_hi:[0,0,1]
	v_pk_add_f32 v[0:1], v[48:49], v[0:1]
	v_mov_b32_e32 v65, v217
	v_mov_b32_e32 v220, v218
	;; [unrolled: 1-line block ×3, first 2 shown]
	v_pk_mul_f32 v[60:61], v[60:61], s[48:49] op_sel_hi:[1,0]
	v_pk_add_f32 v[0:1], v[64:65], v[0:1]
	v_mov_b32_e32 v69, v71
	v_pk_add_f32 v[36:37], v[220:221], v[36:37]
	v_pk_fma_f32 v[220:221], v[224:225], s[8:9], v[60:61] op_sel:[0,0,1] op_sel_hi:[1,0,0]
	v_pk_fma_f32 v[60:61], v[224:225], s[8:9], v[60:61] op_sel:[0,0,1] op_sel_hi:[1,0,0] neg_lo:[0,0,1] neg_hi:[0,0,1]
	v_pk_add_f32 v[0:1], v[68:69], v[0:1]
	v_mov_b32_e32 v51, v219
	v_mov_b32_e32 v222, v220
	;; [unrolled: 1-line block ×3, first 2 shown]
	v_pk_add_f32 v[0:1], v[50:51], v[0:1]
	v_mov_b32_e32 v61, v221
	v_pk_add_f32 v[36:37], v[222:223], v[36:37]
	v_pk_add_f32 v[0:1], v[60:61], v[0:1]
	v_mov_b32_e32 v229, v231
	v_mov_b32_e32 v141, v143
	ds_write2_b64 v74, v[36:37], v[0:1] offset0:56 offset1:63
	v_mov_b32_e32 v235, v237
	v_pk_add_f32 v[0:1], v[186:187], v[228:229]
	v_mov_b32_e32 v149, v151
	v_pk_add_f32 v[2:3], v[186:187], v[140:141]
	v_pk_add_f32 v[0:1], v[234:235], v[0:1]
	v_mov_b32_e32 v239, v241
	v_pk_add_f32 v[2:3], v[148:149], v[2:3]
	v_mov_b32_e32 v153, v155
	;; [unrolled: 2-line block ×12, first 2 shown]
	v_pk_add_f32 v[0:1], v[232:233], v[0:1]
	v_pk_add_f32 v[2:3], v[178:179], v[2:3]
	v_mov_b32_e32 v73, v97
	v_mov_b32_e32 v29, v31
	ds_write2_b64 v74, v[0:1], v[2:3] offset0:70 offset1:77
	v_mov_b32_e32 v99, v101
	v_pk_add_f32 v[0:1], v[186:187], v[72:73]
	v_pk_add_f32 v[2:3], v[186:187], v[28:29]
	v_mov_b32_e32 v27, v215
	v_pk_add_f32 v[0:1], v[98:99], v[0:1]
	v_mov_b32_e32 v105, v103
	;; [unrolled: 2-line block ×13, first 2 shown]
	v_pk_add_f32 v[0:1], v[4:5], v[0:1]
	v_pk_add_f32 v[2:3], v[24:25], v[2:3]
	v_mov_b32_e32 v177, v57
	v_mov_b32_e32 v89, v87
	ds_write2_b64 v74, v[0:1], v[2:3] offset0:84 offset1:91
	v_pk_add_f32 v[0:1], v[186:187], v[176:177]
	v_mov_b32_e32 v181, v139
	v_pk_add_f32 v[2:3], v[186:187], v[88:89]
	v_mov_b32_e32 v93, v95
	;; [unrolled: 2-line block ×14, first 2 shown]
	v_pk_add_f32 v[0:1], v[206:207], v[0:1]
	v_pk_add_f32 v[2:3], v[172:173], v[2:3]
	v_accvgpr_read_b32 v41, a3
	ds_write2_b64 v74, v[0:1], v[2:3] offset0:98 offset1:105
	v_pk_add_f32 v[0:1], v[186:187], v[40:41]
	v_accvgpr_read_b32 v43, a5
	v_pk_add_f32 v[0:1], v[42:43], v[0:1]
	v_accvgpr_read_b32 v47, a7
	v_pk_add_f32 v[0:1], v[46:47], v[0:1]
	v_accvgpr_read_b32 v55, a9
	v_pk_add_f32 v[0:1], v[54:55], v[0:1]
	v_accvgpr_read_b32 v59, a11
	v_pk_add_f32 v[0:1], v[58:59], v[0:1]
	v_mov_b32_e32 v77, v75
	v_pk_add_f32 v[0:1], v[76:77], v[0:1]
	v_mov_b32_e32 v81, v137
	;; [unrolled: 2-line block ×3, first 2 shown]
	v_accvgpr_read_b32 v224, a242
	v_accvgpr_read_b32 v226, a244
	;; [unrolled: 1-line block ×48, first 2 shown]
	v_add_u32_e32 v126, 0x110, v114
	v_accvgpr_read_b32 v146, a212
	v_accvgpr_read_b32 v148, a214
	v_accvgpr_read_b32 v147, a212
	v_accvgpr_read_b32 v244, a64
	v_accvgpr_read_b32 v245, a64
	v_accvgpr_read_b32 v149, a214
	v_accvgpr_read_b32 v222, a152
	v_accvgpr_read_b32 v223, a152
	v_accvgpr_read_b32 v34, a200
	v_accvgpr_read_b32 v36, a202
	v_accvgpr_read_b32 v35, a200
	v_accvgpr_read_b32 v242, a60
	v_accvgpr_read_b32 v243, a60
	v_accvgpr_read_b32 v37, a202
	v_accvgpr_read_b32 v220, a0
	v_accvgpr_read_b32 v221, a0
	v_add_u32_e32 v150, 0x198, v114
	v_accvgpr_read_b32 v140, a196
	v_accvgpr_read_b32 v142, a198
	v_accvgpr_read_b32 v141, a196
	v_accvgpr_read_b32 v240, a66
	v_accvgpr_read_b32 v241, a66
	v_accvgpr_read_b32 v143, a198
	v_accvgpr_read_b32 v178, a254
	v_accvgpr_read_b32 v179, a254
	v_accvgpr_read_b32 v48, a188
	v_accvgpr_read_b32 v50, a190
	v_accvgpr_read_b32 v49, a188
	v_accvgpr_read_b32 v238, a20
	v_accvgpr_read_b32 v239, a20
	v_accvgpr_read_b32 v51, a190
	v_accvgpr_read_b32 v96, a252
	v_accvgpr_read_b32 v97, a252
	;; [unrolled: 17-line block ×4, first 2 shown]
	v_add_u32_e32 v103, 0x330, v114
	v_pk_add_f32 v[0:1], v[84:85], v[0:1]
	ds_write_b64 v74, v[0:1] offset:896
	s_and_saveexec_b64 s[56:57], vcc
	s_cbranch_execz .LBB0_9
; %bb.8:
	v_accvgpr_write_b32 a10, v64
	v_accvgpr_write_b32 a11, v65
	buffer_load_dword v62, off, s[76:79], 0 offset:260 ; 4-byte Folded Reload
	buffer_load_dword v63, off, s[76:79], 0 offset:264 ; 4-byte Folded Reload
	;; [unrolled: 1-line block ×4, first 2 shown]
	v_accvgpr_read_b32 v44, a100
	v_accvgpr_read_b32 v78, a112
	;; [unrolled: 1-line block ×7, first 2 shown]
	v_accvgpr_write_b32 a103, v51
	v_accvgpr_read_b32 v52, a96
	v_accvgpr_read_b32 v79, a113
	v_pk_mul_f32 v[0:1], v[46:47], v[80:81] op_sel:[0,1]
	v_accvgpr_write_b32 a102, v50
	v_accvgpr_write_b32 a101, v49
	;; [unrolled: 1-line block ×3, first 2 shown]
	v_accvgpr_read_b32 v48, a104
	v_accvgpr_read_b32 v86, a136
	;; [unrolled: 1-line block ×5, first 2 shown]
	v_accvgpr_write_b32 a99, v37
	v_pk_mul_f32 v[4:5], v[44:45], v[78:79] op_sel:[0,1]
	v_accvgpr_read_b32 v50, a106
	v_accvgpr_read_b32 v51, a107
	;; [unrolled: 1-line block ×4, first 2 shown]
	v_accvgpr_write_b32 a53, v9
	v_accvgpr_write_b32 a153, v97
	;; [unrolled: 1-line block ×5, first 2 shown]
	v_pk_fma_f32 v[36:37], v[46:47], v[80:81], v[0:1] op_sel:[0,0,1] op_sel_hi:[1,1,0]
	v_pk_fma_f32 v[0:1], v[46:47], v[80:81], v[0:1] op_sel:[0,0,1] op_sel_hi:[1,0,0] neg_lo:[1,0,0] neg_hi:[1,0,0]
	v_accvgpr_read_b32 v49, a105
	v_accvgpr_read_b32 v87, a137
	v_accvgpr_write_b32 a52, v8
	v_pk_mul_f32 v[8:9], v[50:51], v[88:89] op_sel:[0,1]
	v_accvgpr_write_b32 a152, v96
	v_accvgpr_read_b32 v94, a144
	v_mov_b32_e32 v37, v1
	v_pk_fma_f32 v[42:43], v[44:45], v[78:79], v[4:5] op_sel:[0,0,1] op_sel_hi:[1,1,0]
	v_pk_fma_f32 v[0:1], v[44:45], v[78:79], v[4:5] op_sel:[0,0,1] op_sel_hi:[1,0,0] neg_lo:[1,0,0] neg_hi:[1,0,0]
	v_pk_mul_f32 v[12:13], v[48:49], v[86:87] op_sel:[0,1]
	v_accvgpr_read_b32 v96, a146
	v_accvgpr_read_b32 v97, a147
	v_accvgpr_write_b32 a14, v70
	v_accvgpr_write_b32 a54, v72
	;; [unrolled: 1-line block ×3, first 2 shown]
	v_accvgpr_read_b32 v38, a76
	v_mov_b32_e32 v43, v1
	v_pk_fma_f32 v[44:45], v[50:51], v[88:89], v[8:9] op_sel:[0,0,1] op_sel_hi:[1,1,0]
	v_pk_fma_f32 v[0:1], v[50:51], v[88:89], v[8:9] op_sel:[0,0,1] op_sel_hi:[1,0,0] neg_lo:[1,0,0] neg_hi:[1,0,0]
	v_accvgpr_read_b32 v95, a145
	v_pk_mul_f32 v[16:17], v[54:55], v[96:97] op_sel:[0,1]
	v_accvgpr_write_b32 a15, v71
	v_accvgpr_write_b32 a55, v73
	v_accvgpr_read_b32 v70, a92
	v_accvgpr_write_b32 a81, v105
	v_accvgpr_write_b32 a82, v106
	;; [unrolled: 1-line block ×4, first 2 shown]
	v_accvgpr_read_b32 v102, a154
	v_accvgpr_read_b32 v39, a77
	;; [unrolled: 1-line block ×4, first 2 shown]
	v_accvgpr_write_b32 a76, v98
	v_mov_b32_e32 v45, v1
	v_pk_fma_f32 v[46:47], v[48:49], v[86:87], v[12:13] op_sel:[0,0,1] op_sel_hi:[1,1,0]
	v_pk_fma_f32 v[0:1], v[48:49], v[86:87], v[12:13] op_sel:[0,0,1] op_sel_hi:[1,0,0] neg_lo:[1,0,0] neg_hi:[1,0,0]
	v_pk_mul_f32 v[20:21], v[52:53], v[94:95] op_sel:[0,1]
	v_accvgpr_read_b32 v72, a94
	v_accvgpr_read_b32 v73, a95
	v_accvgpr_read_b32 v104, a156
	v_accvgpr_read_b32 v105, a157
	v_accvgpr_write_b32 a77, v99
	v_accvgpr_write_b32 a78, v100
	;; [unrolled: 1-line block ×3, first 2 shown]
	v_accvgpr_read_b32 v98, a148
	v_mov_b32_e32 v47, v1
	v_pk_fma_f32 v[48:49], v[54:55], v[96:97], v[16:17] op_sel:[0,0,1] op_sel_hi:[1,1,0]
	v_pk_fma_f32 v[0:1], v[54:55], v[96:97], v[16:17] op_sel:[0,0,1] op_sel_hi:[1,0,0] neg_lo:[1,0,0] neg_hi:[1,0,0]
	v_accvgpr_write_b32 a12, v66
	v_accvgpr_write_b32 a44, v68
	v_pk_mul_f32 v[24:25], v[72:73], v[104:105] op_sel:[0,1]
	v_accvgpr_read_b32 v100, a150
	v_accvgpr_read_b32 v101, a151
	v_mov_b32_e32 v49, v1
	v_pk_fma_f32 v[50:51], v[52:53], v[94:95], v[20:21] op_sel:[0,0,1] op_sel_hi:[1,1,0]
	v_pk_fma_f32 v[0:1], v[52:53], v[94:95], v[20:21] op_sel:[0,0,1] op_sel_hi:[1,0,0] neg_lo:[1,0,0] neg_hi:[1,0,0]
	v_accvgpr_write_b32 a13, v67
	v_accvgpr_write_b32 a45, v69
	v_accvgpr_read_b32 v66, a88
	v_accvgpr_read_b32 v82, a124
	;; [unrolled: 1-line block ×4, first 2 shown]
	v_pk_mul_f32 v[30:31], v[40:41], v[100:101] op_sel_hi:[1,0]
	v_mov_b32_e32 v51, v1
	v_pk_fma_f32 v[52:53], v[72:73], v[104:105], v[24:25] op_sel:[0,0,1] op_sel_hi:[1,1,0]
	v_pk_fma_f32 v[0:1], v[72:73], v[104:105], v[24:25] op_sel:[0,0,1] op_sel_hi:[1,0,0] neg_lo:[1,0,0] neg_hi:[1,0,0]
	v_accvgpr_read_b32 v67, a89
	v_accvgpr_read_b32 v83, a125
	v_accvgpr_write_b32 a24, v60
	v_pk_mul_f32 v[28:29], v[70:71], v[102:103] op_sel:[0,1]
	v_mov_b32_e32 v53, v1
	v_pk_fma_f32 v[54:55], v[40:41], v[100:101], v[30:31] op_sel:[1,1,0] op_sel_hi:[0,1,1]
	v_pk_fma_f32 v[0:1], v[40:41], v[100:101], v[30:31] op_sel:[1,1,0] op_sel_hi:[0,1,1] neg_lo:[0,0,1] neg_hi:[0,0,1]
	v_accvgpr_read_b32 v68, a90
	v_accvgpr_read_b32 v69, a91
	;; [unrolled: 1-line block ×4, first 2 shown]
	v_pk_mul_f32 v[10:11], v[66:67], v[82:83] op_sel_hi:[1,0]
	v_accvgpr_write_b32 a25, v61
	v_accvgpr_read_b32 v58, a84
	v_accvgpr_read_b32 v90, a140
	v_mov_b32_e32 v55, v1
	v_pk_fma_f32 v[56:57], v[70:71], v[102:103], v[28:29] op_sel:[0,0,1] op_sel_hi:[1,1,0]
	v_pk_fma_f32 v[0:1], v[70:71], v[102:103], v[28:29] op_sel:[0,0,1] op_sel_hi:[1,0,0] neg_lo:[1,0,0] neg_hi:[1,0,0]
	v_pk_mul_f32 v[14:15], v[68:69], v[84:85] op_sel:[0,1]
	v_accvgpr_read_b32 v59, a85
	v_accvgpr_read_b32 v91, a141
	v_mov_b32_e32 v57, v1
	v_pk_fma_f32 v[0:1], v[66:67], v[82:83], v[10:11] op_sel:[1,1,0] op_sel_hi:[0,1,1]
	v_pk_fma_f32 v[4:5], v[66:67], v[82:83], v[10:11] op_sel:[1,1,0] op_sel_hi:[0,1,1] neg_lo:[0,0,1] neg_hi:[0,0,1]
	v_accvgpr_read_b32 v60, a86
	v_accvgpr_read_b32 v61, a87
	;; [unrolled: 1-line block ×4, first 2 shown]
	v_pk_mul_f32 v[18:19], v[58:59], v[90:91] op_sel:[0,1]
	v_mov_b32_e32 v1, v5
	v_pk_fma_f32 v[4:5], v[68:69], v[84:85], v[14:15] op_sel:[0,0,1] op_sel_hi:[1,1,0]
	v_pk_fma_f32 v[8:9], v[68:69], v[84:85], v[14:15] op_sel:[0,0,1] op_sel_hi:[1,0,0] neg_lo:[1,0,0] neg_hi:[1,0,0]
	v_accvgpr_read_b32 v74, a108
	v_pk_mul_f32 v[22:23], v[60:61], v[92:93] op_sel:[0,1]
	v_accvgpr_read_b32 v99, a149
	v_mov_b32_e32 v5, v9
	v_pk_fma_f32 v[8:9], v[58:59], v[90:91], v[18:19] op_sel:[0,0,1] op_sel_hi:[1,1,0]
	v_pk_fma_f32 v[10:11], v[58:59], v[90:91], v[18:19] op_sel:[0,0,1] op_sel_hi:[1,0,0] neg_lo:[1,0,0] neg_hi:[1,0,0]
	v_accvgpr_read_b32 v75, a109
	v_pk_mul_f32 v[26:27], v[38:39], v[98:99] op_sel:[0,1]
	v_mov_b32_e32 v9, v11
	v_pk_fma_f32 v[58:59], v[60:61], v[92:93], v[22:23] op_sel:[0,0,1] op_sel_hi:[1,1,0]
	v_pk_fma_f32 v[10:11], v[60:61], v[92:93], v[22:23] op_sel:[0,0,1] op_sel_hi:[1,0,0] neg_lo:[1,0,0] neg_hi:[1,0,0]
	v_accvgpr_read_b32 v76, a110
	v_accvgpr_read_b32 v77, a111
	s_waitcnt vmcnt(2)
	v_pk_mul_f32 v[2:3], v[62:63], v[74:75] op_sel:[0,1]
	v_mov_b32_e32 v59, v11
	v_pk_fma_f32 v[60:61], v[38:39], v[98:99], v[26:27] op_sel:[0,0,1] op_sel_hi:[1,1,0]
	v_pk_fma_f32 v[10:11], v[38:39], v[98:99], v[26:27] op_sel:[0,0,1] op_sel_hi:[1,0,0] neg_lo:[1,0,0] neg_hi:[1,0,0]
	s_waitcnt vmcnt(0)
	v_pk_mul_f32 v[6:7], v[64:65], v[76:77] op_sel:[0,1]
	v_mov_b32_e32 v61, v11
	v_pk_fma_f32 v[10:11], v[62:63], v[74:75], v[2:3] op_sel:[0,0,1] op_sel_hi:[1,1,0]
	v_pk_fma_f32 v[2:3], v[62:63], v[74:75], v[2:3] op_sel:[0,0,1] op_sel_hi:[1,0,0] neg_lo:[1,0,0] neg_hi:[1,0,0]
	v_accvgpr_read_b32 v116, a74
	v_accvgpr_read_b32 v117, a75
	v_mov_b32_e32 v11, v3
	v_pk_fma_f32 v[2:3], v[64:65], v[76:77], v[6:7] op_sel:[0,0,1] op_sel_hi:[1,1,0]
	v_pk_fma_f32 v[6:7], v[64:65], v[76:77], v[6:7] op_sel:[0,0,1] op_sel_hi:[1,0,0] neg_lo:[1,0,0] neg_hi:[1,0,0]
	v_accvgpr_write_b32 a147, v33
	v_mov_b32_e32 v3, v7
	v_pk_add_f32 v[6:7], v[116:117], v[10:11]
	v_accvgpr_write_b32 a146, v32
	v_accvgpr_read_b32 v32, a43
	v_pk_add_f32 v[6:7], v[2:3], v[6:7]
	v_and_b32_e32 v32, 0xff, v32
	v_accvgpr_read_b32 v33, a19
	v_pk_add_f32 v[6:7], v[0:1], v[6:7]
	v_pk_add_f32 v[202:203], v[10:11], v[36:37] neg_lo:[0,1] neg_hi:[0,1]
	v_lshl_add_u32 v151, v32, 3, v33
	v_pk_add_f32 v[6:7], v[4:5], v[6:7]
	v_pk_add_f32 v[200:201], v[36:37], v[10:11]
	;; [unrolled: 1-line block ×3, first 2 shown]
	v_pk_add_f32 v[32:33], v[2:3], v[42:43] neg_lo:[0,1] neg_hi:[0,1]
	v_pk_mul_f32 v[2:3], v[202:203], s[18:19] op_sel_hi:[1,0]
	v_pk_add_f32 v[62:63], v[8:9], v[6:7]
	v_pk_add_f32 v[38:39], v[44:45], v[0:1]
	v_pk_add_f32 v[34:35], v[0:1], v[44:45] neg_lo:[0,1] neg_hi:[0,1]
	v_pk_add_f32 v[172:173], v[48:49], v[8:9]
	v_pk_add_f32 v[138:139], v[8:9], v[48:49] neg_lo:[0,1] neg_hi:[0,1]
	v_pk_fma_f32 v[0:1], v[200:201], s[12:13], v[2:3] op_sel:[0,0,1] op_sel_hi:[1,0,0]
	v_pk_fma_f32 v[76:77], v[200:201], s[12:13], v[2:3] op_sel:[0,0,1] op_sel_hi:[1,0,0] neg_lo:[0,0,1] neg_hi:[0,0,1]
	v_pk_mul_f32 v[8:9], v[32:33], s[30:31] op_sel_hi:[1,0]
	v_pk_add_f32 v[186:187], v[4:5], v[46:47] neg_lo:[0,1] neg_hi:[0,1]
	v_mov_b32_e32 v2, v0
	v_mov_b32_e32 v3, v77
	v_pk_fma_f32 v[10:11], v[198:199], s[0:1], v[8:9] op_sel:[0,0,1] op_sel_hi:[1,0,0]
	v_pk_fma_f32 v[8:9], v[198:199], s[0:1], v[8:9] op_sel:[0,0,1] op_sel_hi:[1,0,0] neg_lo:[0,0,1] neg_hi:[0,0,1]
	v_pk_mul_f32 v[12:13], v[34:35], s[42:43] op_sel_hi:[1,0]
	v_pk_add_f32 v[180:181], v[46:47], v[4:5]
	v_pk_add_f32 v[144:145], v[50:51], v[58:59]
	v_pk_add_f32 v[90:91], v[58:59], v[50:51] neg_lo:[0,1] neg_hi:[0,1]
	v_pk_add_f32 v[2:3], v[116:117], v[2:3]
	v_accvgpr_write_b32 a33, v11
	v_mov_b32_e32 v11, v9
	v_pk_fma_f32 v[14:15], v[38:39], s[2:3], v[12:13] op_sel:[0,0,1] op_sel_hi:[1,0,0]
	v_pk_fma_f32 v[12:13], v[38:39], s[2:3], v[12:13] op_sel:[0,0,1] op_sel_hi:[1,0,0] neg_lo:[0,0,1] neg_hi:[0,0,1]
	v_pk_mul_f32 v[16:17], v[186:187], s[28:29] op_sel_hi:[1,0]
	v_pk_add_f32 v[58:59], v[58:59], v[62:63]
	v_pk_add_f32 v[2:3], v[10:11], v[2:3]
	v_accvgpr_write_b32 a39, v15
	v_mov_b32_e32 v15, v13
	v_pk_fma_f32 v[18:19], v[180:181], s[8:9], v[16:17] op_sel:[0,0,1] op_sel_hi:[1,0,0]
	v_pk_fma_f32 v[16:17], v[180:181], s[8:9], v[16:17] op_sel:[0,0,1] op_sel_hi:[1,0,0] neg_lo:[0,0,1] neg_hi:[0,0,1]
	v_pk_mul_f32 v[20:21], v[138:139], s[16:17] op_sel_hi:[1,0]
	v_pk_add_f32 v[58:59], v[60:61], v[58:59]
	v_pk_add_f32 v[92:93], v[56:57], v[54:55]
	v_pk_add_f32 v[78:79], v[54:55], v[56:57] neg_lo:[0,1] neg_hi:[0,1]
	v_pk_add_f32 v[2:3], v[14:15], v[2:3]
	v_accvgpr_write_b32 a43, v19
	v_mov_b32_e32 v19, v17
	v_pk_fma_f32 v[22:23], v[172:173], s[14:15], v[20:21] op_sel:[0,0,1] op_sel_hi:[1,0,0]
	v_pk_fma_f32 v[20:21], v[172:173], s[14:15], v[20:21] op_sel:[0,0,1] op_sel_hi:[1,0,0] neg_lo:[0,0,1] neg_hi:[0,0,1]
	v_pk_add_f32 v[54:55], v[54:55], v[58:59]
	v_pk_add_f32 v[2:3], v[18:19], v[2:3]
	v_accvgpr_write_b32 a57, v23
	v_mov_b32_e32 v23, v21
	v_pk_mul_f32 v[24:25], v[90:91], s[22:23] op_sel_hi:[1,0]
	v_pk_add_f32 v[54:55], v[56:57], v[54:55]
	v_pk_add_f32 v[128:129], v[52:53], v[60:61]
	v_pk_add_f32 v[134:135], v[60:61], v[52:53] neg_lo:[0,1] neg_hi:[0,1]
	v_pk_add_f32 v[2:3], v[22:23], v[2:3]
	v_pk_fma_f32 v[22:23], v[144:145], s[20:21], v[24:25] op_sel:[0,0,1] op_sel_hi:[1,0,0]
	v_pk_fma_f32 v[24:25], v[144:145], s[20:21], v[24:25] op_sel:[0,0,1] op_sel_hi:[1,0,0] neg_lo:[0,0,1] neg_hi:[0,0,1]
	v_pk_add_f32 v[52:53], v[52:53], v[54:55]
	v_mov_b32_e32 v26, v22
	v_mov_b32_e32 v27, v25
	v_pk_mul_f32 v[28:29], v[134:135], s[26:27] op_sel_hi:[1,0]
	v_pk_add_f32 v[50:51], v[50:51], v[52:53]
	v_pk_add_f32 v[2:3], v[26:27], v[2:3]
	v_pk_fma_f32 v[26:27], v[128:129], s[24:25], v[28:29] op_sel:[0,0,1] op_sel_hi:[1,0,0]
	v_pk_fma_f32 v[28:29], v[128:129], s[24:25], v[28:29] op_sel:[0,0,1] op_sel_hi:[1,0,0] neg_lo:[0,0,1] neg_hi:[0,0,1]
	v_pk_add_f32 v[48:49], v[48:49], v[50:51]
	v_mov_b32_e32 v30, v26
	v_mov_b32_e32 v31, v29
	v_pk_mul_f32 v[40:41], v[78:79], s[36:37] op_sel_hi:[1,0]
	v_pk_add_f32 v[46:47], v[46:47], v[48:49]
	v_pk_add_f32 v[2:3], v[30:31], v[2:3]
	v_pk_fma_f32 v[30:31], v[92:93], s[34:35], v[40:41] op_sel:[0,0,1] op_sel_hi:[1,0,0]
	v_pk_fma_f32 v[40:41], v[92:93], s[34:35], v[40:41] op_sel:[0,0,1] op_sel_hi:[1,0,0] neg_lo:[0,0,1] neg_hi:[0,0,1]
	v_pk_add_f32 v[44:45], v[44:45], v[46:47]
	v_mov_b32_e32 v64, v30
	v_mov_b32_e32 v65, v41
	v_pk_add_f32 v[42:43], v[42:43], v[44:45]
	v_pk_add_f32 v[2:3], v[64:65], v[2:3]
	;; [unrolled: 1-line block ×3, first 2 shown]
	v_add_u32_e32 v0, 0x800, v151
	ds_write2_b64 v0, v[36:37], v[2:3] offset0:220 offset1:227
	v_pk_mul_f32 v[2:3], v[202:203], s[30:31] op_sel_hi:[1,0]
	v_pk_fma_f32 v[42:43], v[200:201], s[0:1], v[2:3] op_sel:[0,0,1] op_sel_hi:[1,0,0]
	v_pk_fma_f32 v[44:45], v[200:201], s[0:1], v[2:3] op_sel:[0,0,1] op_sel_hi:[1,0,0] neg_lo:[0,0,1] neg_hi:[0,0,1]
	v_pk_mul_f32 v[36:37], v[32:33], s[28:29] op_sel_hi:[1,0]
	v_mov_b32_e32 v2, v42
	v_mov_b32_e32 v3, v45
	v_pk_fma_f32 v[46:47], v[198:199], s[8:9], v[36:37] op_sel:[0,0,1] op_sel_hi:[1,0,0]
	v_pk_fma_f32 v[52:53], v[198:199], s[8:9], v[36:37] op_sel:[0,0,1] op_sel_hi:[1,0,0] neg_lo:[0,0,1] neg_hi:[0,0,1]
	v_pk_add_f32 v[2:3], v[116:117], v[2:3]
	v_mov_b32_e32 v36, v46
	v_mov_b32_e32 v37, v53
	v_pk_add_f32 v[2:3], v[36:37], v[2:3]
	v_pk_mul_f32 v[36:37], v[34:35], s[22:23] op_sel_hi:[1,0]
	v_pk_fma_f32 v[54:55], v[38:39], s[20:21], v[36:37] op_sel:[0,0,1] op_sel_hi:[1,0,0]
	v_pk_fma_f32 v[56:57], v[38:39], s[20:21], v[36:37] op_sel:[0,0,1] op_sel_hi:[1,0,0] neg_lo:[0,0,1] neg_hi:[0,0,1]
	v_mov_b32_e32 v36, v54
	v_mov_b32_e32 v37, v57
	v_pk_add_f32 v[2:3], v[36:37], v[2:3]
	v_pk_mul_f32 v[36:37], v[186:187], s[36:37] op_sel_hi:[1,0]
	v_pk_fma_f32 v[58:59], v[180:181], s[34:35], v[36:37] op_sel:[0,0,1] op_sel_hi:[1,0,0]
	v_pk_fma_f32 v[74:75], v[180:181], s[34:35], v[36:37] op_sel:[0,0,1] op_sel_hi:[1,0,0] neg_lo:[0,0,1] neg_hi:[0,0,1]
	;; [unrolled: 6-line block ×6, first 2 shown]
	v_mov_b32_e32 v36, v88
	v_mov_b32_e32 v37, v95
	v_pk_add_f32 v[48:49], v[36:37], v[2:3]
	v_pk_mul_f32 v[2:3], v[202:203], s[42:43] op_sel_hi:[1,0]
	v_pk_fma_f32 v[14:15], v[200:201], s[2:3], v[2:3] op_sel:[0,0,1] op_sel_hi:[1,0,0]
	v_mov_b32_e32 v13, v118
	v_pk_fma_f32 v[118:119], v[200:201], s[2:3], v[2:3] op_sel:[0,0,1] op_sel_hi:[1,0,0] neg_lo:[0,0,1] neg_hi:[0,0,1]
	v_pk_mul_f32 v[36:37], v[32:33], s[22:23] op_sel_hi:[1,0]
	v_mov_b32_e32 v2, v14
	v_mov_b32_e32 v3, v119
	v_pk_fma_f32 v[130:131], v[198:199], s[20:21], v[36:37] op_sel:[0,0,1] op_sel_hi:[1,0,0]
	v_pk_fma_f32 v[132:133], v[198:199], s[20:21], v[36:37] op_sel:[0,0,1] op_sel_hi:[1,0,0] neg_lo:[0,0,1] neg_hi:[0,0,1]
	v_pk_add_f32 v[2:3], v[116:117], v[2:3]
	v_mov_b32_e32 v36, v130
	v_mov_b32_e32 v37, v133
	v_pk_add_f32 v[2:3], v[36:37], v[2:3]
	v_pk_mul_f32 v[36:37], v[34:35], s[54:55] op_sel_hi:[1,0]
	v_pk_fma_f32 v[214:215], v[38:39], s[34:35], v[36:37] op_sel:[0,0,1] op_sel_hi:[1,0,0]
	v_pk_fma_f32 v[168:169], v[38:39], s[34:35], v[36:37] op_sel:[0,0,1] op_sel_hi:[1,0,0] neg_lo:[0,0,1] neg_hi:[0,0,1]
	v_pk_mul_f32 v[50:51], v[186:187], s[46:47] op_sel_hi:[1,0]
	v_mov_b32_e32 v36, v214
	v_mov_b32_e32 v37, v169
	v_pk_fma_f32 v[10:11], v[180:181], s[14:15], v[50:51] op_sel:[0,0,1] op_sel_hi:[1,0,0]
	v_pk_fma_f32 v[176:177], v[180:181], s[14:15], v[50:51] op_sel:[0,0,1] op_sel_hi:[1,0,0] neg_lo:[0,0,1] neg_hi:[0,0,1]
	v_pk_add_f32 v[36:37], v[36:37], v[2:3]
	v_mov_b32_e32 v50, v10
	v_mov_b32_e32 v51, v177
	v_pk_add_f32 v[36:37], v[50:51], v[36:37]
	v_pk_mul_f32 v[50:51], v[138:139], s[44:45] op_sel_hi:[1,0]
	v_pk_fma_f32 v[182:183], v[172:173], s[0:1], v[50:51] op_sel:[0,0,1] op_sel_hi:[1,0,0]
	v_pk_fma_f32 v[184:185], v[172:173], s[0:1], v[50:51] op_sel:[0,0,1] op_sel_hi:[1,0,0] neg_lo:[0,0,1] neg_hi:[0,0,1]
	v_mov_b32_e32 v50, v182
	v_mov_b32_e32 v51, v185
	v_pk_add_f32 v[36:37], v[50:51], v[36:37]
	v_pk_mul_f32 v[50:51], v[90:91], s[18:19] op_sel_hi:[1,0]
	v_pk_fma_f32 v[188:189], v[144:145], s[12:13], v[50:51] op_sel:[0,0,1] op_sel_hi:[1,0,0]
	v_pk_fma_f32 v[190:191], v[144:145], s[12:13], v[50:51] op_sel:[0,0,1] op_sel_hi:[1,0,0] neg_lo:[0,0,1] neg_hi:[0,0,1]
	;; [unrolled: 6-line block ×3, first 2 shown]
	v_mov_b32_e32 v50, v192
	v_mov_b32_e32 v51, v195
	v_pk_mul_f32 v[60:61], v[78:79], s[26:27] op_sel_hi:[1,0]
	v_pk_add_f32 v[50:51], v[50:51], v[36:37]
	v_pk_fma_f32 v[36:37], v[92:93], s[24:25], v[60:61] op_sel:[0,0,1] op_sel_hi:[1,0,0]
	v_pk_fma_f32 v[196:197], v[92:93], s[24:25], v[60:61] op_sel:[0,0,1] op_sel_hi:[1,0,0] neg_lo:[0,0,1] neg_hi:[0,0,1]
	v_mov_b32_e32 v60, v36
	v_mov_b32_e32 v61, v197
	v_pk_add_f32 v[50:51], v[60:61], v[50:51]
	ds_write2_b64 v0, v[48:49], v[50:51] offset0:234 offset1:241
	v_pk_mul_f32 v[50:51], v[202:203], s[28:29] op_sel_hi:[1,0]
	v_pk_fma_f32 v[48:49], v[200:201], s[8:9], v[50:51] op_sel:[0,0,1] op_sel_hi:[1,0,0]
	v_pk_fma_f32 v[64:65], v[200:201], s[8:9], v[50:51] op_sel:[0,0,1] op_sel_hi:[1,0,0] neg_lo:[0,0,1] neg_hi:[0,0,1]
	v_mov_b32_e32 v50, v48
	v_mov_b32_e32 v51, v65
	v_pk_mul_f32 v[60:61], v[32:33], s[36:37] op_sel_hi:[1,0]
	v_pk_add_f32 v[62:63], v[116:117], v[50:51]
	v_pk_fma_f32 v[50:51], v[198:199], s[34:35], v[60:61] op_sel:[0,0,1] op_sel_hi:[1,0,0]
	v_pk_fma_f32 v[60:61], v[198:199], s[34:35], v[60:61] op_sel:[0,0,1] op_sel_hi:[1,0,0] neg_lo:[0,0,1] neg_hi:[0,0,1]
	v_mov_b32_e32 v66, v50
	v_mov_b32_e32 v67, v61
	v_pk_add_f32 v[68:69], v[66:67], v[62:63]
	v_pk_mul_f32 v[66:67], v[34:35], s[46:47] op_sel_hi:[1,0]
	v_pk_fma_f32 v[62:63], v[38:39], s[14:15], v[66:67] op_sel:[0,0,1] op_sel_hi:[1,0,0]
	v_pk_fma_f32 v[66:67], v[38:39], s[14:15], v[66:67] op_sel:[0,0,1] op_sel_hi:[1,0,0] neg_lo:[0,0,1] neg_hi:[0,0,1]
	v_mov_b32_e32 v70, v62
	v_mov_b32_e32 v71, v67
	v_pk_add_f32 v[72:73], v[70:71], v[68:69]
	v_pk_mul_f32 v[70:71], v[186:187], s[40:41] op_sel_hi:[1,0]
	;; [unrolled: 6-line block ×5, first 2 shown]
	v_pk_fma_f32 v[102:103], v[128:129], s[20:21], v[104:105] op_sel:[0,0,1] op_sel_hi:[1,0,0]
	v_pk_fma_f32 v[104:105], v[128:129], s[20:21], v[104:105] op_sel:[0,0,1] op_sel_hi:[1,0,0] neg_lo:[0,0,1] neg_hi:[0,0,1]
	v_accvgpr_write_b32 a84, v108
	v_accvgpr_write_b32 a85, v109
	;; [unrolled: 1-line block ×4, first 2 shown]
	v_mov_b32_e32 v108, v102
	v_mov_b32_e32 v109, v105
	v_pk_mul_f32 v[110:111], v[78:79], s[44:45] op_sel_hi:[1,0]
	v_pk_add_f32 v[108:109], v[108:109], v[106:107]
	v_pk_fma_f32 v[106:107], v[92:93], s[0:1], v[110:111] op_sel:[0,0,1] op_sel_hi:[1,0,0]
	v_pk_fma_f32 v[204:205], v[92:93], s[0:1], v[110:111] op_sel:[0,0,1] op_sel_hi:[1,0,0] neg_lo:[0,0,1] neg_hi:[0,0,1]
	v_mov_b32_e32 v110, v106
	v_mov_b32_e32 v111, v205
	v_accvgpr_write_b32 a92, v140
	v_accvgpr_write_b32 a93, v141
	;; [unrolled: 1-line block ×4, first 2 shown]
	v_pk_add_f32 v[140:141], v[110:111], v[108:109]
	v_pk_mul_f32 v[110:111], v[202:203], s[16:17] op_sel_hi:[1,0]
	v_pk_fma_f32 v[108:109], v[200:201], s[14:15], v[110:111] op_sel:[0,0,1] op_sel_hi:[1,0,0]
	v_pk_fma_f32 v[110:111], v[200:201], s[14:15], v[110:111] op_sel:[0,0,1] op_sel_hi:[1,0,0] neg_lo:[0,0,1] neg_hi:[0,0,1]
	v_accvgpr_write_b32 a129, v113
	v_accvgpr_write_b32 a128, v112
	v_mov_b32_e32 v112, v108
	v_mov_b32_e32 v113, v111
	v_accvgpr_write_b32 a88, v120
	v_mov_b32_e32 v9, v115
	v_pk_mul_f32 v[114:115], v[32:33], s[50:51] op_sel_hi:[1,0]
	v_accvgpr_write_b32 a89, v121
	v_accvgpr_write_b32 a90, v122
	;; [unrolled: 1-line block ×3, first 2 shown]
	v_pk_add_f32 v[120:121], v[116:117], v[112:113]
	v_pk_fma_f32 v[112:113], v[198:199], s[24:25], v[114:115] op_sel:[0,0,1] op_sel_hi:[1,0,0]
	v_pk_fma_f32 v[114:115], v[198:199], s[24:25], v[114:115] op_sel:[0,0,1] op_sel_hi:[1,0,0] neg_lo:[0,0,1] neg_hi:[0,0,1]
	v_mov_b32_e32 v122, v112
	v_mov_b32_e32 v123, v115
	v_accvgpr_write_b32 a135, v125
	v_accvgpr_write_b32 a134, v124
	v_pk_add_f32 v[124:125], v[122:123], v[120:121]
	v_pk_mul_f32 v[122:123], v[34:35], s[44:45] op_sel_hi:[1,0]
	v_pk_fma_f32 v[120:121], v[38:39], s[0:1], v[122:123] op_sel:[0,0,1] op_sel_hi:[1,0,0]
	v_pk_fma_f32 v[122:123], v[38:39], s[0:1], v[122:123] op_sel:[0,0,1] op_sel_hi:[1,0,0] neg_lo:[0,0,1] neg_hi:[0,0,1]
	v_mov_b32_e32 v10, v126
	v_mov_b32_e32 v126, v120
	;; [unrolled: 1-line block ×3, first 2 shown]
	v_pk_add_f32 v[142:143], v[126:127], v[124:125]
	v_pk_mul_f32 v[126:127], v[186:187], s[42:43] op_sel_hi:[1,0]
	v_pk_fma_f32 v[124:125], v[180:181], s[2:3], v[126:127] op_sel:[0,0,1] op_sel_hi:[1,0,0]
	v_pk_fma_f32 v[126:127], v[180:181], s[2:3], v[126:127] op_sel:[0,0,1] op_sel_hi:[1,0,0] neg_lo:[0,0,1] neg_hi:[0,0,1]
	v_accvgpr_write_b32 a104, v146
	v_accvgpr_write_b32 a105, v147
	;; [unrolled: 1-line block ×4, first 2 shown]
	v_mov_b32_e32 v146, v124
	v_mov_b32_e32 v147, v127
	v_pk_add_f32 v[142:143], v[146:147], v[142:143]
	v_pk_mul_f32 v[146:147], v[138:139], s[36:37] op_sel_hi:[1,0]
	v_pk_fma_f32 v[206:207], v[172:173], s[34:35], v[146:147] op_sel:[0,0,1] op_sel_hi:[1,0,0]
	v_pk_fma_f32 v[208:209], v[172:173], s[34:35], v[146:147] op_sel:[0,0,1] op_sel_hi:[1,0,0] neg_lo:[0,0,1] neg_hi:[0,0,1]
	v_mov_b32_e32 v146, v206
	v_mov_b32_e32 v147, v209
	v_pk_add_f32 v[142:143], v[146:147], v[142:143]
	v_pk_mul_f32 v[146:147], v[90:91], s[48:49] op_sel_hi:[1,0]
	v_pk_fma_f32 v[210:211], v[144:145], s[8:9], v[146:147] op_sel:[0,0,1] op_sel_hi:[1,0,0]
	v_pk_fma_f32 v[212:213], v[144:145], s[8:9], v[146:147] op_sel:[0,0,1] op_sel_hi:[1,0,0] neg_lo:[0,0,1] neg_hi:[0,0,1]
	;; [unrolled: 6-line block ×3, first 2 shown]
	v_accvgpr_write_b32 a108, v152
	v_accvgpr_write_b32 a109, v153
	;; [unrolled: 1-line block ×4, first 2 shown]
	v_mov_b32_e32 v152, v148
	v_mov_b32_e32 v153, v147
	v_pk_add_f32 v[142:143], v[152:153], v[142:143]
	v_pk_mul_f32 v[152:153], v[78:79], s[22:23] op_sel_hi:[1,0]
	v_pk_fma_f32 v[154:155], v[92:93], s[20:21], v[152:153] op_sel:[0,0,1] op_sel_hi:[1,0,0]
	v_pk_fma_f32 v[152:153], v[92:93], s[20:21], v[152:153] op_sel:[0,0,1] op_sel_hi:[1,0,0] neg_lo:[0,0,1] neg_hi:[0,0,1]
	v_accvgpr_write_b32 a112, v156
	v_accvgpr_write_b32 a113, v157
	;; [unrolled: 1-line block ×4, first 2 shown]
	v_mov_b32_e32 v156, v154
	v_mov_b32_e32 v157, v153
	v_pk_add_f32 v[142:143], v[156:157], v[142:143]
	ds_write2_b64 v0, v[140:141], v[142:143] offset0:248 offset1:255
	v_pk_mul_f32 v[140:141], v[202:203], s[22:23] op_sel_hi:[1,0]
	v_pk_fma_f32 v[142:143], v[200:201], s[20:21], v[140:141] op_sel:[0,0,1] op_sel_hi:[1,0,0]
	v_pk_fma_f32 v[140:141], v[200:201], s[20:21], v[140:141] op_sel:[0,0,1] op_sel_hi:[1,0,0] neg_lo:[0,0,1] neg_hi:[0,0,1]
	v_pk_mul_f32 v[158:159], v[32:33], s[46:47] op_sel_hi:[1,0]
	v_accvgpr_write_b32 a116, v160
	v_mov_b32_e32 v156, v142
	v_mov_b32_e32 v157, v141
	v_accvgpr_write_b32 a117, v161
	v_accvgpr_write_b32 a118, v162
	;; [unrolled: 1-line block ×3, first 2 shown]
	v_pk_fma_f32 v[160:161], v[198:199], s[14:15], v[158:159] op_sel:[0,0,1] op_sel_hi:[1,0,0]
	v_pk_fma_f32 v[158:159], v[198:199], s[14:15], v[158:159] op_sel:[0,0,1] op_sel_hi:[1,0,0] neg_lo:[0,0,1] neg_hi:[0,0,1]
	v_pk_add_f32 v[156:157], v[116:117], v[156:157]
	v_mov_b32_e32 v162, v160
	v_mov_b32_e32 v163, v159
	v_pk_add_f32 v[156:157], v[162:163], v[156:157]
	v_pk_mul_f32 v[162:163], v[34:35], s[18:19] op_sel_hi:[1,0]
	v_accvgpr_write_b32 a120, v164
	v_accvgpr_write_b32 a121, v165
	;; [unrolled: 1-line block ×4, first 2 shown]
	v_pk_fma_f32 v[164:165], v[38:39], s[12:13], v[162:163] op_sel:[0,0,1] op_sel_hi:[1,0,0]
	v_pk_fma_f32 v[162:163], v[38:39], s[12:13], v[162:163] op_sel:[0,0,1] op_sel_hi:[1,0,0] neg_lo:[0,0,1] neg_hi:[0,0,1]
	v_mov_b32_e32 v166, v164
	v_mov_b32_e32 v167, v163
	v_pk_add_f32 v[156:157], v[166:167], v[156:157]
	v_pk_mul_f32 v[166:167], v[186:187], s[26:27] op_sel_hi:[1,0]
	v_accvgpr_write_b32 a136, v170
	v_accvgpr_write_b32 a137, v171
	v_pk_fma_f32 v[170:171], v[180:181], s[24:25], v[166:167] op_sel:[0,0,1] op_sel_hi:[1,0,0]
	v_pk_fma_f32 v[166:167], v[180:181], s[24:25], v[166:167] op_sel:[0,0,1] op_sel_hi:[1,0,0] neg_lo:[0,0,1] neg_hi:[0,0,1]
	v_accvgpr_write_b32 a138, v174
	v_accvgpr_write_b32 a139, v175
	v_mov_b32_e32 v174, v170
	v_mov_b32_e32 v175, v167
	v_pk_add_f32 v[156:157], v[174:175], v[156:157]
	v_pk_mul_f32 v[174:175], v[138:139], s[48:49] op_sel_hi:[1,0]
	v_accvgpr_write_b32 a140, v178
	v_accvgpr_write_b32 a141, v179
	v_pk_fma_f32 v[178:179], v[172:173], s[8:9], v[174:175] op_sel:[0,0,1] op_sel_hi:[1,0,0]
	v_pk_fma_f32 v[174:175], v[172:173], s[8:9], v[174:175] op_sel:[0,0,1] op_sel_hi:[1,0,0] neg_lo:[0,0,1] neg_hi:[0,0,1]
	v_accvgpr_write_b32 a144, v222
	v_accvgpr_write_b32 a145, v223
	v_mov_b32_e32 v222, v178
	v_mov_b32_e32 v223, v175
	v_pk_add_f32 v[156:157], v[222:223], v[156:157]
	v_pk_mul_f32 v[222:223], v[90:91], s[30:31] op_sel_hi:[1,0]
	v_accvgpr_write_b32 a130, v224
	v_accvgpr_write_b32 a131, v225
	;; [unrolled: 1-line block ×4, first 2 shown]
	v_pk_fma_f32 v[224:225], v[144:145], s[0:1], v[222:223] op_sel:[0,0,1] op_sel_hi:[1,0,0]
	v_pk_fma_f32 v[222:223], v[144:145], s[0:1], v[222:223] op_sel:[0,0,1] op_sel_hi:[1,0,0] neg_lo:[0,0,1] neg_hi:[0,0,1]
	v_mov_b32_e32 v226, v224
	v_mov_b32_e32 v227, v223
	v_pk_add_f32 v[156:157], v[226:227], v[156:157]
	v_pk_mul_f32 v[226:227], v[134:135], s[36:37] op_sel_hi:[1,0]
	v_accvgpr_write_b32 a18, v228
	v_accvgpr_write_b32 a19, v229
	v_pk_fma_f32 v[228:229], v[128:129], s[34:35], v[226:227] op_sel:[0,0,1] op_sel_hi:[1,0,0]
	v_pk_fma_f32 v[226:227], v[128:129], s[34:35], v[226:227] op_sel:[0,0,1] op_sel_hi:[1,0,0] neg_lo:[0,0,1] neg_hi:[0,0,1]
	v_accvgpr_write_b32 a2, v230
	v_accvgpr_write_b32 a3, v231
	v_mov_b32_e32 v230, v228
	v_mov_b32_e32 v231, v227
	v_pk_add_f32 v[156:157], v[230:231], v[156:157]
	v_pk_mul_f32 v[230:231], v[78:79], s[38:39] op_sel_hi:[1,0]
	v_accvgpr_write_b32 a4, v232
	v_accvgpr_write_b32 a5, v233
	v_pk_fma_f32 v[232:233], v[92:93], s[2:3], v[230:231] op_sel:[0,0,1] op_sel_hi:[1,0,0]
	v_pk_fma_f32 v[230:231], v[92:93], s[2:3], v[230:231] op_sel:[0,0,1] op_sel_hi:[1,0,0] neg_lo:[0,0,1] neg_hi:[0,0,1]
	v_accvgpr_write_b32 a6, v234
	v_accvgpr_write_b32 a7, v235
	v_mov_b32_e32 v234, v232
	v_mov_b32_e32 v235, v231
	v_pk_add_f32 v[156:157], v[234:235], v[156:157]
	v_pk_mul_f32 v[234:235], v[202:203], s[26:27] op_sel_hi:[1,0]
	v_accvgpr_write_b32 a8, v236
	v_accvgpr_write_b32 a20, v240
	;; [unrolled: 1-line block ×3, first 2 shown]
	v_pk_fma_f32 v[236:237], v[200:201], s[24:25], v[234:235] op_sel:[0,0,1] op_sel_hi:[1,0,0]
	v_pk_fma_f32 v[234:235], v[200:201], s[24:25], v[234:235] op_sel:[0,0,1] op_sel_hi:[1,0,0] neg_lo:[0,0,1] neg_hi:[0,0,1]
	v_accvgpr_write_b32 a16, v238
	v_accvgpr_write_b32 a21, v241
	v_pk_mul_f32 v[240:241], v[32:33], s[38:39] op_sel_hi:[1,0]
	v_accvgpr_write_b32 a34, v242
	v_accvgpr_write_b32 a17, v239
	v_mov_b32_e32 v238, v236
	v_mov_b32_e32 v239, v235
	v_accvgpr_write_b32 a35, v243
	v_pk_fma_f32 v[242:243], v[198:199], s[2:3], v[240:241] op_sel:[0,0,1] op_sel_hi:[1,0,0]
	v_pk_fma_f32 v[240:241], v[198:199], s[2:3], v[240:241] op_sel:[0,0,1] op_sel_hi:[1,0,0] neg_lo:[0,0,1] neg_hi:[0,0,1]
	v_accvgpr_write_b32 a40, v244
	v_pk_add_f32 v[238:239], v[116:117], v[238:239]
	v_accvgpr_write_b32 a41, v245
	v_mov_b32_e32 v244, v242
	v_mov_b32_e32 v245, v241
	v_pk_add_f32 v[238:239], v[244:245], v[238:239]
	v_pk_mul_f32 v[244:245], v[34:35], s[28:29] op_sel_hi:[1,0]
	v_accvgpr_write_b32 a48, v246
	v_accvgpr_write_b32 a49, v247
	v_pk_fma_f32 v[246:247], v[38:39], s[8:9], v[244:245] op_sel:[0,0,1] op_sel_hi:[1,0,0]
	v_pk_fma_f32 v[244:245], v[38:39], s[8:9], v[244:245] op_sel:[0,0,1] op_sel_hi:[1,0,0] neg_lo:[0,0,1] neg_hi:[0,0,1]
	v_accvgpr_write_b32 a22, v248
	v_accvgpr_write_b32 a23, v249
	v_mov_b32_e32 v248, v246
	v_mov_b32_e32 v249, v245
	v_pk_add_f32 v[238:239], v[248:249], v[238:239]
	v_pk_mul_f32 v[248:249], v[186:187], s[52:53] op_sel_hi:[1,0]
	v_accvgpr_write_b32 a26, v250
	v_accvgpr_write_b32 a27, v251
	v_pk_fma_f32 v[250:251], v[180:181], s[20:21], v[248:249] op_sel:[0,0,1] op_sel_hi:[1,0,0]
	v_pk_fma_f32 v[248:249], v[180:181], s[20:21], v[248:249] op_sel:[0,0,1] op_sel_hi:[1,0,0] neg_lo:[0,0,1] neg_hi:[0,0,1]
	v_mov_b32_e32 v252, v250
	v_mov_b32_e32 v253, v249
	v_pk_add_f32 v[238:239], v[252:253], v[238:239]
	v_pk_mul_f32 v[252:253], v[138:139], s[18:19] op_sel_hi:[1,0]
	v_accvgpr_write_b32 a124, v216
	v_accvgpr_write_b32 a125, v217
	;; [unrolled: 1-line block ×4, first 2 shown]
	v_pk_fma_f32 v[216:217], v[172:173], s[12:13], v[252:253] op_sel:[0,0,1] op_sel_hi:[1,0,0]
	v_pk_fma_f32 v[252:253], v[172:173], s[12:13], v[252:253] op_sel:[0,0,1] op_sel_hi:[1,0,0] neg_lo:[0,0,1] neg_hi:[0,0,1]
	v_mov_b32_e32 v254, v216
	v_mov_b32_e32 v255, v253
	v_pk_add_f32 v[238:239], v[254:255], v[238:239]
	v_pk_mul_f32 v[254:255], v[90:91], s[36:37] op_sel_hi:[1,0]
	v_accvgpr_write_b32 a142, v220
	v_accvgpr_write_b32 a143, v221
	v_pk_fma_f32 v[220:221], v[144:145], s[34:35], v[254:255] op_sel:[0,0,1] op_sel_hi:[1,0,0]
	v_pk_fma_f32 v[254:255], v[144:145], s[34:35], v[254:255] op_sel:[0,0,1] op_sel_hi:[1,0,0] neg_lo:[0,0,1] neg_hi:[0,0,1]
	v_mov_b32_e32 v218, v220
	v_mov_b32_e32 v219, v255
	v_pk_add_f32 v[218:219], v[218:219], v[238:239]
	v_pk_mul_f32 v[238:239], v[134:135], s[44:45] op_sel_hi:[1,0]
	v_pk_fma_f32 v[6:7], v[128:129], s[0:1], v[238:239] op_sel:[0,0,1] op_sel_hi:[1,0,0]
	v_pk_fma_f32 v[238:239], v[128:129], s[0:1], v[238:239] op_sel:[0,0,1] op_sel_hi:[1,0,0] neg_lo:[0,0,1] neg_hi:[0,0,1]
	v_accvgpr_write_b32 a31, v1
	v_mov_b32_e32 v0, v6
	v_mov_b32_e32 v1, v239
	v_pk_add_f32 v[0:1], v[0:1], v[218:219]
	v_pk_mul_f32 v[218:219], v[78:79], s[16:17] op_sel_hi:[1,0]
	v_pk_fma_f32 v[4:5], v[92:93], s[14:15], v[218:219] op_sel:[0,0,1] op_sel_hi:[1,0,0]
	v_pk_fma_f32 v[218:219], v[92:93], s[14:15], v[218:219] op_sel:[0,0,1] op_sel_hi:[1,0,0] neg_lo:[0,0,1] neg_hi:[0,0,1]
	v_mov_b32_e32 v2, v4
	v_mov_b32_e32 v3, v219
	v_pk_add_f32 v[0:1], v[2:3], v[0:1]
	v_add_u32_e32 v4, 0x1000, v151
	ds_write2_b64 v4, v[156:157], v[0:1] offset0:6 offset1:13
	v_pk_mul_f32 v[0:1], v[202:203], s[36:37] op_sel_hi:[1,0]
	v_pk_fma_f32 v[2:3], v[200:201], s[34:35], v[0:1] op_sel:[0,0,1] op_sel_hi:[1,0,0]
	v_pk_fma_f32 v[0:1], v[200:201], s[34:35], v[0:1] op_sel:[0,0,1] op_sel_hi:[1,0,0] neg_lo:[0,0,1] neg_hi:[0,0,1]
	v_pk_mul_f32 v[32:33], v[32:33], s[40:41] op_sel_hi:[1,0]
	v_pk_fma_f32 v[156:157], v[198:199], s[12:13], v[32:33] op_sel:[0,0,1] op_sel_hi:[1,0,0]
	v_pk_fma_f32 v[32:33], v[198:199], s[12:13], v[32:33] op_sel:[0,0,1] op_sel_hi:[1,0,0] neg_lo:[0,0,1] neg_hi:[0,0,1]
	v_mov_b32_e32 v198, v2
	v_mov_b32_e32 v199, v1
	v_pk_add_f32 v[198:199], v[116:117], v[198:199]
	v_mov_b32_e32 v200, v156
	v_mov_b32_e32 v201, v33
	v_pk_mul_f32 v[34:35], v[34:35], s[26:27] op_sel_hi:[1,0]
	v_pk_add_f32 v[198:199], v[200:201], v[198:199]
	v_pk_fma_f32 v[200:201], v[38:39], s[24:25], v[34:35] op_sel:[0,0,1] op_sel_hi:[1,0,0]
	v_pk_fma_f32 v[34:35], v[38:39], s[24:25], v[34:35] op_sel:[0,0,1] op_sel_hi:[1,0,0] neg_lo:[0,0,1] neg_hi:[0,0,1]
	v_mov_b32_e32 v38, v200
	v_mov_b32_e32 v39, v35
	v_pk_mul_f32 v[186:187], v[186:187], s[44:45] op_sel_hi:[1,0]
	v_pk_add_f32 v[38:39], v[38:39], v[198:199]
	v_pk_fma_f32 v[198:199], v[180:181], s[0:1], v[186:187] op_sel:[0,0,1] op_sel_hi:[1,0,0]
	v_pk_fma_f32 v[180:181], v[180:181], s[0:1], v[186:187] op_sel:[0,0,1] op_sel_hi:[1,0,0] neg_lo:[0,0,1] neg_hi:[0,0,1]
	;; [unrolled: 6-line block ×3, first 2 shown]
	v_mov_b32_e32 v1, v3
	v_mov_b32_e32 v172, v186
	;; [unrolled: 1-line block ×3, first 2 shown]
	v_pk_mul_f32 v[90:91], v[90:91], s[38:39] op_sel_hi:[1,0]
	v_mov_b32_e32 v33, v157
	v_pk_add_f32 v[0:1], v[116:117], v[0:1]
	v_pk_add_f32 v[38:39], v[172:173], v[38:39]
	v_pk_fma_f32 v[172:173], v[144:145], s[2:3], v[90:91] op_sel:[0,0,1] op_sel_hi:[1,0,0]
	v_pk_fma_f32 v[90:91], v[144:145], s[2:3], v[90:91] op_sel:[0,0,1] op_sel_hi:[1,0,0] neg_lo:[0,0,1] neg_hi:[0,0,1]
	v_pk_add_f32 v[0:1], v[32:33], v[0:1]
	v_mov_b32_e32 v35, v201
	v_mov_b32_e32 v144, v172
	;; [unrolled: 1-line block ×3, first 2 shown]
	v_pk_mul_f32 v[134:135], v[134:135], s[16:17] op_sel_hi:[1,0]
	v_pk_add_f32 v[0:1], v[34:35], v[0:1]
	v_mov_b32_e32 v181, v199
	v_pk_add_f32 v[38:39], v[144:145], v[38:39]
	v_pk_fma_f32 v[144:145], v[128:129], s[14:15], v[134:135] op_sel:[0,0,1] op_sel_hi:[1,0,0]
	v_pk_fma_f32 v[128:129], v[128:129], s[14:15], v[134:135] op_sel:[0,0,1] op_sel_hi:[1,0,0] neg_lo:[0,0,1] neg_hi:[0,0,1]
	v_pk_add_f32 v[0:1], v[180:181], v[0:1]
	v_mov_b32_e32 v139, v187
	v_mov_b32_e32 v134, v144
	;; [unrolled: 1-line block ×3, first 2 shown]
	v_pk_mul_f32 v[78:79], v[78:79], s[48:49] op_sel_hi:[1,0]
	v_pk_add_f32 v[0:1], v[138:139], v[0:1]
	v_mov_b32_e32 v91, v173
	v_pk_add_f32 v[38:39], v[134:135], v[38:39]
	v_pk_fma_f32 v[134:135], v[92:93], s[8:9], v[78:79] op_sel:[0,0,1] op_sel_hi:[1,0,0]
	v_pk_fma_f32 v[78:79], v[92:93], s[8:9], v[78:79] op_sel:[0,0,1] op_sel_hi:[1,0,0] neg_lo:[0,0,1] neg_hi:[0,0,1]
	v_pk_add_f32 v[0:1], v[90:91], v[0:1]
	v_mov_b32_e32 v129, v145
	v_mov_b32_e32 v92, v134
	;; [unrolled: 1-line block ×3, first 2 shown]
	v_pk_add_f32 v[0:1], v[128:129], v[0:1]
	v_mov_b32_e32 v79, v135
	v_pk_add_f32 v[38:39], v[92:93], v[38:39]
	v_pk_add_f32 v[0:1], v[78:79], v[0:1]
	v_mov_b32_e32 v235, v237
	v_mov_b32_e32 v141, v143
	ds_write2_b64 v4, v[38:39], v[0:1] offset0:20 offset1:27
	v_pk_add_f32 v[0:1], v[116:117], v[234:235]
	v_mov_b32_e32 v241, v243
	v_pk_add_f32 v[2:3], v[116:117], v[140:141]
	v_mov_b32_e32 v159, v161
	v_pk_add_f32 v[0:1], v[240:241], v[0:1]
	v_mov_b32_e32 v245, v247
	v_pk_add_f32 v[2:3], v[158:159], v[2:3]
	v_mov_b32_e32 v163, v165
	v_pk_add_f32 v[0:1], v[244:245], v[0:1]
	v_mov_b32_e32 v249, v251
	v_pk_add_f32 v[2:3], v[162:163], v[2:3]
	v_mov_b32_e32 v167, v171
	v_pk_add_f32 v[0:1], v[248:249], v[0:1]
	v_mov_b32_e32 v253, v217
	v_pk_add_f32 v[2:3], v[166:167], v[2:3]
	v_mov_b32_e32 v175, v179
	v_pk_add_f32 v[0:1], v[252:253], v[0:1]
	v_mov_b32_e32 v255, v221
	v_pk_add_f32 v[2:3], v[174:175], v[2:3]
	v_mov_b32_e32 v223, v225
	v_pk_add_f32 v[0:1], v[254:255], v[0:1]
	v_mov_b32_e32 v239, v7
	v_pk_add_f32 v[2:3], v[222:223], v[2:3]
	v_mov_b32_e32 v227, v229
	v_pk_add_f32 v[0:1], v[238:239], v[0:1]
	v_mov_b32_e32 v219, v5
	v_pk_add_f32 v[2:3], v[226:227], v[2:3]
	v_mov_b32_e32 v231, v233
	v_pk_add_f32 v[0:1], v[218:219], v[0:1]
	v_pk_add_f32 v[2:3], v[230:231], v[2:3]
	v_mov_b32_e32 v111, v109
	v_mov_b32_e32 v65, v49
	ds_write2_b64 v4, v[0:1], v[2:3] offset0:34 offset1:41
	v_pk_add_f32 v[0:1], v[116:117], v[110:111]
	v_mov_b32_e32 v115, v113
	v_pk_add_f32 v[2:3], v[116:117], v[64:65]
	v_mov_b32_e32 v61, v51
	v_pk_add_f32 v[0:1], v[114:115], v[0:1]
	v_mov_b32_e32 v123, v121
	v_pk_add_f32 v[2:3], v[60:61], v[2:3]
	v_mov_b32_e32 v67, v63
	v_pk_add_f32 v[0:1], v[122:123], v[0:1]
	v_mov_b32_e32 v127, v125
	v_pk_add_f32 v[2:3], v[66:67], v[2:3]
	v_mov_b32_e32 v71, v69
	v_pk_add_f32 v[0:1], v[126:127], v[0:1]
	v_mov_b32_e32 v209, v207
	v_pk_add_f32 v[2:3], v[70:71], v[2:3]
	v_mov_b32_e32 v97, v73
	v_pk_add_f32 v[0:1], v[208:209], v[0:1]
	v_mov_b32_e32 v213, v211
	v_pk_add_f32 v[2:3], v[96:97], v[2:3]
	v_mov_b32_e32 v101, v99
	v_pk_add_f32 v[0:1], v[212:213], v[0:1]
	v_mov_b32_e32 v147, v149
	v_pk_add_f32 v[2:3], v[100:101], v[2:3]
	v_mov_b32_e32 v105, v103
	v_pk_add_f32 v[0:1], v[146:147], v[0:1]
	v_mov_b32_e32 v153, v155
	;; [unrolled: 33-line block ×3, first 2 shown]
	v_pk_add_f32 v[2:3], v[86:87], v[2:3]
	v_mov_b32_e32 v95, v89
	v_pk_add_f32 v[0:1], v[196:197], v[0:1]
	v_pk_add_f32 v[2:3], v[94:95], v[2:3]
	v_accvgpr_read_b32 v77, a31
	v_mov_b32_e32 v115, v9
	ds_write2_b64 v4, v[0:1], v[2:3] offset0:62 offset1:69
	v_pk_add_f32 v[0:1], v[116:117], v[76:77]
	v_accvgpr_read_b32 v9, a33
	v_mov_b32_e32 v118, v13
	v_pk_add_f32 v[0:1], v[8:9], v[0:1]
	v_accvgpr_read_b32 v13, a39
	v_pk_add_f32 v[0:1], v[12:13], v[0:1]
	v_accvgpr_read_b32 v17, a43
	;; [unrolled: 2-line block ×3, first 2 shown]
	v_pk_add_f32 v[0:1], v[20:21], v[0:1]
	v_mov_b32_e32 v25, v23
	v_pk_add_f32 v[0:1], v[24:25], v[0:1]
	v_mov_b32_e32 v29, v27
	v_accvgpr_read_b32 v32, a146
	v_accvgpr_read_b32 v237, a9
	;; [unrolled: 1-line block ×42, first 2 shown]
	v_pk_add_f32 v[0:1], v[28:29], v[0:1]
	v_mov_b32_e32 v41, v31
	v_accvgpr_read_b32 v33, a147
	v_accvgpr_read_b32 v236, a8
	v_accvgpr_read_b32 v234, a6
	v_accvgpr_read_b32 v242, a34
	v_accvgpr_read_b32 v240, a20
	v_accvgpr_read_b32 v246, a48
	v_accvgpr_read_b32 v244, a40
	v_accvgpr_read_b32 v250, a26
	v_accvgpr_read_b32 v248, a22
	v_accvgpr_read_b32 v220, a142
	v_accvgpr_read_b32 v238, a16
	v_accvgpr_read_b32 v218, a126
	v_accvgpr_read_b32 v217, a125
	v_accvgpr_read_b32 v216, a124
	v_accvgpr_read_b32 v142, a94
	v_accvgpr_read_b32 v141, a93
	v_accvgpr_read_b32 v140, a92
	v_accvgpr_read_b32 v158, a114
	v_accvgpr_read_b32 v157, a113
	v_accvgpr_read_b32 v156, a112
	v_accvgpr_read_b32 v162, a118
	v_accvgpr_read_b32 v161, a117
	v_accvgpr_read_b32 v160, a116
	v_accvgpr_read_b32 v170, a136
	v_accvgpr_read_b32 v166, a122
	v_accvgpr_read_b32 v165, a121
	v_accvgpr_read_b32 v164, a120
	v_accvgpr_read_b32 v178, a140
	v_accvgpr_read_b32 v174, a138
	v_accvgpr_read_b32 v222, a144
	v_accvgpr_read_b32 v228, a18
	v_accvgpr_read_b32 v226, a132
	v_accvgpr_read_b32 v225, a131
	v_accvgpr_read_b32 v224, a130
	v_accvgpr_read_b32 v232, a4
	v_accvgpr_read_b32 v230, a2
	v_accvgpr_read_b32 v110, a86
	v_accvgpr_read_b32 v109, a85
	v_accvgpr_read_b32 v108, a84
	v_accvgpr_read_b32 v113, a129
	v_accvgpr_read_b32 v122, a90
	v_accvgpr_read_b32 v121, a89
	v_accvgpr_read_b32 v120, a88
	v_accvgpr_read_b32 v125, a135
	v_mov_b32_e32 v126, v10
	v_accvgpr_read_b32 v148, a106
	v_accvgpr_read_b32 v147, a105
	;; [unrolled: 1-line block ×28, first 2 shown]
	v_pk_add_f32 v[0:1], v[40:41], v[0:1]
	ds_write_b64 v151, v[0:1] offset:4704
.LBB0_9:
	s_or_b64 exec, exec, s[56:57]
	s_waitcnt lgkmcnt(0)
	; wave barrier
	s_waitcnt lgkmcnt(0)
	ds_read2_b64 v[10:13], v114 offset1:17
	ds_read2_b64 v[0:3], v114 offset0:102 offset1:119
	ds_read2_b64 v[4:7], v114 offset0:238 offset1:255
	v_add_u32_e32 v38, 0x800, v114
	ds_read2_b64 v[20:23], v38 offset0:84 offset1:101
	ds_read2_b64 v[16:19], v38 offset0:220 offset1:237
	v_add_u32_e32 v40, 0xc00, v114
	s_waitcnt lgkmcnt(3)
	v_pk_mul_f32 v[8:9], v[8:9], v[2:3]
	v_pk_fma_f32 v[54:55], v[224:225], v[2:3], v[8:9] op_sel:[0,0,1] op_sel_hi:[1,1,0]
	v_pk_fma_f32 v[2:3], v[224:225], v[2:3], v[8:9] op_sel:[0,0,1] op_sel_hi:[1,1,0] neg_lo:[0,0,1] neg_hi:[0,0,1]
	v_mov_b32_e32 v55, v3
	s_waitcnt lgkmcnt(2)
	v_pk_mul_f32 v[2:3], v[64:65], v[4:5]
	v_pk_fma_f32 v[56:57], v[226:227], v[4:5], v[2:3] op_sel:[0,0,1] op_sel_hi:[1,1,0]
	v_pk_fma_f32 v[2:3], v[226:227], v[4:5], v[2:3] op_sel:[0,0,1] op_sel_hi:[1,1,0] neg_lo:[0,0,1] neg_hi:[0,0,1]
	v_mov_b32_e32 v57, v3
	;; [unrolled: 5-line block ×4, first 2 shown]
	ds_read2_b64 v[2:5], v114 offset0:136 offset1:153
	v_pk_add_f32 v[8:9], v[10:11], v[54:55]
	v_pk_add_f32 v[8:9], v[8:9], v[56:57]
	;; [unrolled: 1-line block ×3, first 2 shown]
	ds_read2_b64 v[22:25], v38 offset0:118 offset1:135
	v_pk_add_f32 v[62:63], v[8:9], v[60:61]
	s_waitcnt lgkmcnt(1)
	v_pk_mul_f32 v[8:9], v[72:73], v[2:3]
	v_pk_fma_f32 v[64:65], v[164:165], v[2:3], v[8:9] op_sel:[0,0,1] op_sel_hi:[1,1,0]
	v_pk_fma_f32 v[2:3], v[164:165], v[2:3], v[8:9] op_sel:[0,0,1] op_sel_hi:[1,1,0] neg_lo:[0,0,1] neg_hi:[0,0,1]
	v_mov_b32_e32 v65, v3
	v_pk_mul_f32 v[2:3], v[66:67], v[6:7]
	v_pk_fma_f32 v[66:67], v[166:167], v[6:7], v[2:3] op_sel:[0,0,1] op_sel_hi:[1,1,0]
	v_pk_fma_f32 v[2:3], v[166:167], v[6:7], v[2:3] op_sel:[0,0,1] op_sel_hi:[1,1,0] neg_lo:[0,0,1] neg_hi:[0,0,1]
	v_mov_b32_e32 v67, v3
	s_waitcnt lgkmcnt(0)
	v_pk_mul_f32 v[2:3], v[68:69], v[22:23]
	v_pk_fma_f32 v[68:69], v[160:161], v[22:23], v[2:3] op_sel:[0,0,1] op_sel_hi:[1,1,0]
	v_pk_fma_f32 v[2:3], v[160:161], v[22:23], v[2:3] op_sel:[0,0,1] op_sel_hi:[1,1,0] neg_lo:[0,0,1] neg_hi:[0,0,1]
	v_mov_b32_e32 v69, v3
	v_pk_mul_f32 v[2:3], v[70:71], v[18:19]
	v_pk_fma_f32 v[70:71], v[162:163], v[18:19], v[2:3] op_sel:[0,0,1] op_sel_hi:[1,1,0]
	v_pk_fma_f32 v[2:3], v[162:163], v[18:19], v[2:3] op_sel:[0,0,1] op_sel_hi:[1,1,0] neg_lo:[0,0,1] neg_hi:[0,0,1]
	v_mov_b32_e32 v71, v3
	v_pk_add_f32 v[2:3], v[12:13], v[64:65]
	ds_read2_b64 v[6:9], v114 offset0:34 offset1:51
	ds_read2_b64 v[16:19], v38 offset0:16 offset1:33
	v_pk_add_f32 v[2:3], v[2:3], v[66:67]
	v_pk_add_f32 v[2:3], v[2:3], v[68:69]
	;; [unrolled: 1-line block ×3, first 2 shown]
	v_pk_mul_f32 v[2:3], v[248:249], v[4:5]
	ds_read2_b64 v[26:29], v40 offset0:126 offset1:143
	v_pk_fma_f32 v[74:75], v[156:157], v[4:5], v[2:3] op_sel:[0,0,1] op_sel_hi:[1,1,0]
	v_pk_fma_f32 v[2:3], v[156:157], v[4:5], v[2:3] op_sel:[0,0,1] op_sel_hi:[1,1,0] neg_lo:[0,0,1] neg_hi:[0,0,1]
	v_mov_b32_e32 v75, v3
	s_waitcnt lgkmcnt(1)
	v_pk_mul_f32 v[2:3], v[228:229], v[16:17]
	v_pk_fma_f32 v[76:77], v[158:159], v[16:17], v[2:3] op_sel:[0,0,1] op_sel_hi:[1,1,0]
	v_pk_fma_f32 v[2:3], v[158:159], v[16:17], v[2:3] op_sel:[0,0,1] op_sel_hi:[1,1,0] neg_lo:[0,0,1] neg_hi:[0,0,1]
	v_mov_b32_e32 v77, v3
	v_pk_mul_f32 v[2:3], v[246:247], v[24:25]
	v_pk_fma_f32 v[78:79], v[152:153], v[24:25], v[2:3] op_sel:[0,0,1] op_sel_hi:[1,1,0]
	v_pk_fma_f32 v[2:3], v[152:153], v[24:25], v[2:3] op_sel:[0,0,1] op_sel_hi:[1,1,0] neg_lo:[0,0,1] neg_hi:[0,0,1]
	v_mov_b32_e32 v79, v3
	s_waitcnt lgkmcnt(0)
	v_pk_mul_f32 v[2:3], v[32:33], v[26:27]
	ds_read2_b64 v[22:25], v114 offset0:170 offset1:187
	v_pk_fma_f32 v[80:81], v[154:155], v[26:27], v[2:3] op_sel:[0,0,1] op_sel_hi:[1,1,0]
	v_pk_fma_f32 v[2:3], v[154:155], v[26:27], v[2:3] op_sel:[0,0,1] op_sel_hi:[1,1,0] neg_lo:[0,0,1] neg_hi:[0,0,1]
	v_mov_b32_e32 v81, v3
	v_pk_add_f32 v[2:3], v[6:7], v[74:75]
	v_pk_add_f32 v[2:3], v[2:3], v[76:77]
	;; [unrolled: 1-line block ×3, first 2 shown]
	ds_read2_b64 v[30:33], v38 offset0:152 offset1:169
	v_pk_add_f32 v[82:83], v[2:3], v[80:81]
	s_waitcnt lgkmcnt(1)
	v_pk_mul_f32 v[2:3], v[244:245], v[22:23]
	v_pk_fma_f32 v[84:85], v[146:147], v[22:23], v[2:3] op_sel:[0,0,1] op_sel_hi:[1,1,0]
	v_pk_fma_f32 v[2:3], v[146:147], v[22:23], v[2:3] op_sel:[0,0,1] op_sel_hi:[1,1,0] neg_lo:[0,0,1] neg_hi:[0,0,1]
	v_mov_b32_e32 v85, v3
	v_pk_mul_f32 v[2:3], v[222:223], v[18:19]
	v_pk_fma_f32 v[86:87], v[148:149], v[18:19], v[2:3] op_sel:[0,0,1] op_sel_hi:[1,1,0]
	v_pk_fma_f32 v[2:3], v[148:149], v[18:19], v[2:3] op_sel:[0,0,1] op_sel_hi:[1,1,0] neg_lo:[0,0,1] neg_hi:[0,0,1]
	v_mov_b32_e32 v87, v3
	s_waitcnt lgkmcnt(0)
	v_pk_mul_f32 v[2:3], v[242:243], v[30:31]
	v_pk_fma_f32 v[88:89], v[34:35], v[30:31], v[2:3] op_sel:[0,0,1] op_sel_hi:[1,1,0]
	v_pk_fma_f32 v[2:3], v[34:35], v[30:31], v[2:3] op_sel:[0,0,1] op_sel_hi:[1,1,0] neg_lo:[0,0,1] neg_hi:[0,0,1]
	v_mov_b32_e32 v89, v3
	v_pk_mul_f32 v[2:3], v[220:221], v[28:29]
	v_pk_fma_f32 v[90:91], v[36:37], v[28:29], v[2:3] op_sel:[0,0,1] op_sel_hi:[1,1,0]
	v_pk_fma_f32 v[2:3], v[36:37], v[28:29], v[2:3] op_sel:[0,0,1] op_sel_hi:[1,1,0] neg_lo:[0,0,1] neg_hi:[0,0,1]
	v_mov_b32_e32 v91, v3
	v_pk_add_f32 v[2:3], v[8:9], v[84:85]
	v_pk_add_f32 v[2:3], v[2:3], v[86:87]
	;; [unrolled: 1-line block ×4, first 2 shown]
	ds_read2_b64 v[2:5], v114 offset0:68 offset1:85
	ds_read2_b64 v[16:19], v38 offset0:50 offset1:67
	v_add_u32_e32 v39, 0x1000, v114
	v_pk_mul_f32 v[22:23], v[240:241], v[24:25]
	ds_read2_b64 v[42:45], v39 offset0:32 offset1:49
	v_pk_fma_f32 v[30:31], v[140:141], v[24:25], v[22:23] op_sel:[0,0,1] op_sel_hi:[1,1,0]
	v_pk_fma_f32 v[22:23], v[140:141], v[24:25], v[22:23] op_sel:[0,0,1] op_sel_hi:[1,1,0] neg_lo:[0,0,1] neg_hi:[0,0,1]
	v_mov_b32_e32 v31, v23
	s_waitcnt lgkmcnt(1)
	v_pk_mul_f32 v[22:23], v[178:179], v[16:17]
	v_pk_fma_f32 v[36:37], v[142:143], v[16:17], v[22:23] op_sel:[0,0,1] op_sel_hi:[1,1,0]
	v_pk_fma_f32 v[16:17], v[142:143], v[16:17], v[22:23] op_sel:[0,0,1] op_sel_hi:[1,1,0] neg_lo:[0,0,1] neg_hi:[0,0,1]
	v_mov_b32_e32 v37, v17
	v_pk_mul_f32 v[16:17], v[238:239], v[32:33]
	v_pk_fma_f32 v[94:95], v[48:49], v[32:33], v[16:17] op_sel:[0,0,1] op_sel_hi:[1,1,0]
	v_pk_fma_f32 v[16:17], v[48:49], v[32:33], v[16:17] op_sel:[0,0,1] op_sel_hi:[1,1,0] neg_lo:[0,0,1] neg_hi:[0,0,1]
	v_mov_b32_e32 v95, v17
	s_waitcnt lgkmcnt(0)
	v_pk_mul_f32 v[16:17], v[96:97], v[42:43]
	ds_read2_b64 v[46:49], v114 offset0:204 offset1:221
	v_pk_fma_f32 v[96:97], v[50:51], v[42:43], v[16:17] op_sel:[0,0,1] op_sel_hi:[1,1,0]
	v_pk_fma_f32 v[16:17], v[50:51], v[42:43], v[16:17] op_sel:[0,0,1] op_sel_hi:[1,1,0] neg_lo:[0,0,1] neg_hi:[0,0,1]
	v_mov_b32_e32 v97, v17
	v_pk_add_f32 v[16:17], v[2:3], v[30:31]
	v_pk_add_f32 v[16:17], v[16:17], v[36:37]
	;; [unrolled: 1-line block ×3, first 2 shown]
	ds_read2_b64 v[50:53], v38 offset0:186 offset1:203
	v_pk_add_f32 v[34:35], v[16:17], v[96:97]
	s_waitcnt lgkmcnt(1)
	v_pk_mul_f32 v[16:17], v[236:237], v[46:47]
	v_pk_fma_f32 v[24:25], v[120:121], v[46:47], v[16:17] op_sel:[0,0,1] op_sel_hi:[1,1,0]
	v_pk_fma_f32 v[16:17], v[120:121], v[46:47], v[16:17] op_sel:[0,0,1] op_sel_hi:[1,1,0] neg_lo:[0,0,1] neg_hi:[0,0,1]
	v_mov_b32_e32 v25, v17
	v_pk_mul_f32 v[16:17], v[174:175], v[18:19]
	v_pk_fma_f32 v[26:27], v[122:123], v[18:19], v[16:17] op_sel:[0,0,1] op_sel_hi:[1,1,0]
	v_pk_fma_f32 v[16:17], v[122:123], v[18:19], v[16:17] op_sel:[0,0,1] op_sel_hi:[1,1,0] neg_lo:[0,0,1] neg_hi:[0,0,1]
	v_mov_b32_e32 v27, v17
	s_waitcnt lgkmcnt(0)
	v_pk_mul_f32 v[16:17], v[234:235], v[50:51]
	v_pk_fma_f32 v[28:29], v[104:105], v[50:51], v[16:17] op_sel:[0,0,1] op_sel_hi:[1,1,0]
	v_pk_fma_f32 v[16:17], v[104:105], v[50:51], v[16:17] op_sel:[0,0,1] op_sel_hi:[1,1,0] neg_lo:[0,0,1] neg_hi:[0,0,1]
	v_mov_b32_e32 v29, v17
	v_pk_mul_f32 v[16:17], v[170:171], v[44:45]
	v_pk_fma_f32 v[32:33], v[106:107], v[44:45], v[16:17] op_sel:[0,0,1] op_sel_hi:[1,1,0]
	v_pk_fma_f32 v[16:17], v[106:107], v[44:45], v[16:17] op_sel:[0,0,1] op_sel_hi:[1,1,0] neg_lo:[0,0,1] neg_hi:[0,0,1]
	v_mov_b32_e32 v33, v17
	v_pk_add_f32 v[16:17], v[4:5], v[24:25]
	ds_read_b64 v[44:45], v114 offset:4624
	v_pk_add_f32 v[16:17], v[16:17], v[26:27]
	v_pk_add_f32 v[16:17], v[16:17], v[28:29]
	v_pk_mul_f32 v[18:19], v[232:233], v[48:49]
	v_pk_add_f32 v[42:43], v[16:17], v[32:33]
	v_pk_fma_f32 v[16:17], v[108:109], v[48:49], v[18:19] op_sel:[0,0,1] op_sel_hi:[1,1,0]
	v_pk_fma_f32 v[18:19], v[108:109], v[48:49], v[18:19] op_sel:[0,0,1] op_sel_hi:[1,1,0] neg_lo:[0,0,1] neg_hi:[0,0,1]
	v_pk_mul_f32 v[22:23], v[124:125], v[20:21]
	v_mov_b32_e32 v17, v19
	v_pk_fma_f32 v[18:19], v[110:111], v[20:21], v[22:23] op_sel:[0,0,1] op_sel_hi:[1,1,0]
	v_pk_fma_f32 v[20:21], v[110:111], v[20:21], v[22:23] op_sel:[0,0,1] op_sel_hi:[1,1,0] neg_lo:[0,0,1] neg_hi:[0,0,1]
	v_pk_mul_f32 v[22:23], v[230:231], v[52:53]
	v_mov_b32_e32 v19, v21
	v_pk_fma_f32 v[20:21], v[98:99], v[52:53], v[22:23] op_sel:[0,0,1] op_sel_hi:[1,1,0]
	v_pk_fma_f32 v[22:23], v[98:99], v[52:53], v[22:23] op_sel:[0,0,1] op_sel_hi:[1,1,0] neg_lo:[0,0,1] neg_hi:[0,0,1]
	s_waitcnt lgkmcnt(0)
	v_pk_mul_f32 v[46:47], v[112:113], v[44:45]
	v_accvgpr_read_b32 v102, a42
	v_mov_b32_e32 v21, v23
	v_pk_fma_f32 v[22:23], v[100:101], v[44:45], v[46:47] op_sel:[0,0,1] op_sel_hi:[1,1,0]
	v_pk_fma_f32 v[44:45], v[100:101], v[44:45], v[46:47] op_sel:[0,0,1] op_sel_hi:[1,1,0] neg_lo:[0,0,1] neg_hi:[0,0,1]
	v_pk_add_f32 v[46:47], v[56:57], v[58:59]
	v_pk_add_f32 v[48:49], v[54:55], v[60:61] neg_lo:[0,1] neg_hi:[0,1]
	s_mov_b32 s2, 0x3f737871
	v_mad_u64_u32 v[14:15], s[0:1], s6, v102, 0
	v_pk_fma_f32 v[46:47], v[46:47], 0.5, v[10:11] op_sel_hi:[1,0,1] neg_lo:[1,0,0] neg_hi:[1,0,0]
	v_pk_mul_f32 v[50:51], v[48:49], s[2:3] op_sel_hi:[1,0]
	v_pk_add_f32 v[52:53], v[56:57], v[58:59] neg_lo:[0,1] neg_hi:[0,1]
	s_mov_b32 s6, 0x3f167918
	v_pk_add_f32 v[98:99], v[54:55], v[56:57] neg_lo:[0,1] neg_hi:[0,1]
	v_pk_add_f32 v[100:101], v[60:61], v[58:59] neg_lo:[0,1] neg_hi:[0,1]
	ds_write_b64 v114, v[62:63]
	v_pk_mul_f32 v[62:63], v[52:53], s[6:7] op_sel_hi:[1,0]
	v_pk_add_f32 v[98:99], v[98:99], v[100:101]
	v_pk_add_f32 v[100:101], v[46:47], v[50:51] op_sel:[0,1] op_sel_hi:[1,0] neg_lo:[0,1] neg_hi:[0,1]
	v_pk_add_f32 v[46:47], v[46:47], v[50:51] op_sel:[0,1] op_sel_hi:[1,0]
	v_pk_add_f32 v[46:47], v[46:47], v[62:63] op_sel:[0,1] op_sel_hi:[1,0]
	v_pk_add_f32 v[50:51], v[100:101], v[62:63] op_sel:[0,1] op_sel_hi:[1,0] neg_lo:[0,1] neg_hi:[0,1]
	s_mov_b32 s0, 0x3e9e377a
	v_mov_b32_e32 v62, v50
	v_mov_b32_e32 v63, v47
	v_pk_fma_f32 v[62:63], v[98:99], s[0:1], v[62:63] op_sel_hi:[1,0,1]
	v_accvgpr_read_b32 v100, a181
	ds_write_b64 v100, v[62:63] offset:952
	v_pk_add_f32 v[62:63], v[54:55], v[60:61]
	v_pk_fma_f32 v[10:11], v[62:63], 0.5, v[10:11] op_sel_hi:[1,0,1] neg_lo:[1,0,0] neg_hi:[1,0,0]
	v_pk_add_f32 v[54:55], v[56:57], v[54:55] neg_lo:[0,1] neg_hi:[0,1]
	v_pk_add_f32 v[56:57], v[58:59], v[60:61] neg_lo:[0,1] neg_hi:[0,1]
	v_pk_mul_f32 v[52:53], v[52:53], s[2:3] op_sel_hi:[1,0]
	v_pk_add_f32 v[54:55], v[54:55], v[56:57]
	v_pk_mul_f32 v[48:49], v[48:49], s[6:7] op_sel_hi:[1,0]
	v_pk_add_f32 v[56:57], v[10:11], v[52:53] op_sel:[0,1] op_sel_hi:[1,0]
	v_pk_add_f32 v[10:11], v[10:11], v[52:53] op_sel:[0,1] op_sel_hi:[1,0] neg_lo:[0,1] neg_hi:[0,1]
	v_pk_add_f32 v[10:11], v[10:11], v[48:49] op_sel:[0,1] op_sel_hi:[1,0]
	v_pk_add_f32 v[48:49], v[56:57], v[48:49] op_sel:[0,1] op_sel_hi:[1,0] neg_lo:[0,1] neg_hi:[0,1]
	v_mov_b32_e32 v53, v11
	v_mov_b32_e32 v11, v49
	;; [unrolled: 1-line block ×3, first 2 shown]
	v_pk_fma_f32 v[10:11], v[54:55], s[0:1], v[10:11] op_sel_hi:[1,0,1]
	v_mov_b32_e32 v47, v51
	v_pk_fma_f32 v[52:53], v[54:55], s[0:1], v[52:53] op_sel_hi:[1,0,1]
	ds_write_b64 v100, v[10:11] offset:2856
	v_pk_fma_f32 v[10:11], v[98:99], s[0:1], v[46:47] op_sel_hi:[1,0,1]
	ds_write_b64 v100, v[52:53] offset:1904
	ds_write_b64 v100, v[10:11] offset:3808
	;; [unrolled: 1-line block ×3, first 2 shown]
	v_pk_add_f32 v[10:11], v[66:67], v[68:69]
	v_pk_add_f32 v[46:47], v[64:65], v[70:71] neg_lo:[0,1] neg_hi:[0,1]
	v_pk_fma_f32 v[10:11], v[10:11], 0.5, v[12:13] op_sel_hi:[1,0,1] neg_lo:[1,0,0] neg_hi:[1,0,0]
	v_pk_mul_f32 v[48:49], v[46:47], s[2:3] op_sel_hi:[1,0]
	v_pk_add_f32 v[50:51], v[66:67], v[68:69] neg_lo:[0,1] neg_hi:[0,1]
	v_pk_add_f32 v[54:55], v[64:65], v[66:67] neg_lo:[0,1] neg_hi:[0,1]
	;; [unrolled: 1-line block ×3, first 2 shown]
	v_pk_mul_f32 v[52:53], v[50:51], s[6:7] op_sel_hi:[1,0]
	v_pk_add_f32 v[54:55], v[54:55], v[56:57]
	v_pk_add_f32 v[56:57], v[10:11], v[48:49] op_sel:[0,1] op_sel_hi:[1,0] neg_lo:[0,1] neg_hi:[0,1]
	v_pk_add_f32 v[10:11], v[10:11], v[48:49] op_sel:[0,1] op_sel_hi:[1,0]
	v_pk_add_f32 v[10:11], v[10:11], v[52:53] op_sel:[0,1] op_sel_hi:[1,0]
	v_pk_add_f32 v[48:49], v[56:57], v[52:53] op_sel:[0,1] op_sel_hi:[1,0] neg_lo:[0,1] neg_hi:[0,1]
	v_mov_b32_e32 v52, v48
	v_mov_b32_e32 v53, v11
	v_pk_fma_f32 v[52:53], v[54:55], s[0:1], v[52:53] op_sel_hi:[1,0,1]
	ds_write_b64 v100, v[52:53] offset:1088
	v_pk_add_f32 v[52:53], v[64:65], v[70:71]
	v_pk_fma_f32 v[12:13], v[52:53], 0.5, v[12:13] op_sel_hi:[1,0,1] neg_lo:[1,0,0] neg_hi:[1,0,0]
	v_pk_add_f32 v[52:53], v[66:67], v[64:65] neg_lo:[0,1] neg_hi:[0,1]
	v_pk_add_f32 v[56:57], v[68:69], v[70:71] neg_lo:[0,1] neg_hi:[0,1]
	v_pk_mul_f32 v[50:51], v[50:51], s[2:3] op_sel_hi:[1,0]
	v_pk_add_f32 v[52:53], v[52:53], v[56:57]
	v_pk_mul_f32 v[46:47], v[46:47], s[6:7] op_sel_hi:[1,0]
	v_pk_add_f32 v[56:57], v[12:13], v[50:51] op_sel:[0,1] op_sel_hi:[1,0]
	v_pk_add_f32 v[12:13], v[12:13], v[50:51] op_sel:[0,1] op_sel_hi:[1,0] neg_lo:[0,1] neg_hi:[0,1]
	v_pk_add_f32 v[12:13], v[12:13], v[46:47] op_sel:[0,1] op_sel_hi:[1,0]
	v_pk_add_f32 v[46:47], v[56:57], v[46:47] op_sel:[0,1] op_sel_hi:[1,0] neg_lo:[0,1] neg_hi:[0,1]
	v_mov_b32_e32 v51, v13
	v_mov_b32_e32 v13, v47
	;; [unrolled: 1-line block ×3, first 2 shown]
	v_pk_fma_f32 v[12:13], v[52:53], s[0:1], v[12:13] op_sel_hi:[1,0,1]
	v_pk_fma_f32 v[10:11], v[54:55], s[0:1], v[10:11] op_sel_hi:[1,0,1]
	v_mov_b32_e32 v50, v46
	ds_write_b64 v100, v[12:13] offset:2992
	ds_write_b64 v100, v[10:11] offset:3944
	v_pk_add_f32 v[10:11], v[76:77], v[78:79]
	v_pk_add_f32 v[12:13], v[74:75], v[80:81] neg_lo:[0,1] neg_hi:[0,1]
	v_pk_fma_f32 v[50:51], v[52:53], s[0:1], v[50:51] op_sel_hi:[1,0,1]
	v_pk_fma_f32 v[10:11], v[10:11], 0.5, v[6:7] op_sel_hi:[1,0,1] neg_lo:[1,0,0] neg_hi:[1,0,0]
	v_pk_mul_f32 v[46:47], v[12:13], s[2:3] op_sel_hi:[1,0]
	v_pk_add_f32 v[48:49], v[76:77], v[78:79] neg_lo:[0,1] neg_hi:[0,1]
	v_pk_add_f32 v[52:53], v[74:75], v[76:77] neg_lo:[0,1] neg_hi:[0,1]
	;; [unrolled: 1-line block ×3, first 2 shown]
	ds_write_b64 v100, v[50:51] offset:2040
	v_pk_mul_f32 v[50:51], v[48:49], s[6:7] op_sel_hi:[1,0]
	v_pk_add_f32 v[52:53], v[52:53], v[54:55]
	v_pk_add_f32 v[54:55], v[10:11], v[46:47] op_sel:[0,1] op_sel_hi:[1,0] neg_lo:[0,1] neg_hi:[0,1]
	v_pk_add_f32 v[10:11], v[10:11], v[46:47] op_sel:[0,1] op_sel_hi:[1,0]
	v_pk_add_f32 v[46:47], v[54:55], v[50:51] op_sel:[0,1] op_sel_hi:[1,0] neg_lo:[0,1] neg_hi:[0,1]
	v_pk_add_f32 v[54:55], v[74:75], v[80:81]
	v_pk_fma_f32 v[6:7], v[54:55], 0.5, v[6:7] op_sel_hi:[1,0,1] neg_lo:[1,0,0] neg_hi:[1,0,0]
	v_pk_add_f32 v[54:55], v[76:77], v[74:75] neg_lo:[0,1] neg_hi:[0,1]
	v_pk_add_f32 v[56:57], v[78:79], v[80:81] neg_lo:[0,1] neg_hi:[0,1]
	v_pk_mul_f32 v[48:49], v[48:49], s[2:3] op_sel_hi:[1,0]
	v_pk_add_f32 v[54:55], v[54:55], v[56:57]
	v_pk_mul_f32 v[12:13], v[12:13], s[6:7] op_sel_hi:[1,0]
	v_pk_add_f32 v[56:57], v[6:7], v[48:49] op_sel:[0,1] op_sel_hi:[1,0]
	v_pk_add_f32 v[6:7], v[6:7], v[48:49] op_sel:[0,1] op_sel_hi:[1,0] neg_lo:[0,1] neg_hi:[0,1]
	v_pk_add_f32 v[10:11], v[10:11], v[50:51] op_sel:[0,1] op_sel_hi:[1,0]
	v_pk_add_f32 v[6:7], v[6:7], v[12:13] op_sel:[0,1] op_sel_hi:[1,0]
	v_pk_add_f32 v[12:13], v[56:57], v[12:13] op_sel:[0,1] op_sel_hi:[1,0] neg_lo:[0,1] neg_hi:[0,1]
	v_mov_b32_e32 v50, v46
	v_mov_b32_e32 v51, v11
	;; [unrolled: 1-line block ×6, first 2 shown]
	v_pk_fma_f32 v[50:51], v[52:53], s[0:1], v[50:51] op_sel_hi:[1,0,1]
	v_pk_fma_f32 v[48:49], v[54:55], s[0:1], v[48:49] op_sel_hi:[1,0,1]
	;; [unrolled: 1-line block ×4, first 2 shown]
	v_add_u32_e32 v12, 0x800, v126
	ds_write2_b64 v126, v[50:51], v[48:49] offset0:119 offset1:238
	ds_write2_b64 v12, v[6:7], v[10:11] offset0:101 offset1:220
	;; [unrolled: 1-line block ×3, first 2 shown]
	v_pk_add_f32 v[6:7], v[86:87], v[88:89]
	v_pk_add_f32 v[10:11], v[84:85], v[90:91] neg_lo:[0,1] neg_hi:[0,1]
	v_pk_fma_f32 v[6:7], v[6:7], 0.5, v[8:9] op_sel_hi:[1,0,1] neg_lo:[1,0,0] neg_hi:[1,0,0]
	v_pk_mul_f32 v[12:13], v[10:11], s[2:3] op_sel_hi:[1,0]
	v_pk_add_f32 v[46:47], v[86:87], v[88:89] neg_lo:[0,1] neg_hi:[0,1]
	v_pk_add_f32 v[50:51], v[84:85], v[86:87] neg_lo:[0,1] neg_hi:[0,1]
	;; [unrolled: 1-line block ×3, first 2 shown]
	v_pk_mul_f32 v[48:49], v[46:47], s[6:7] op_sel_hi:[1,0]
	v_pk_add_f32 v[50:51], v[50:51], v[52:53]
	v_pk_add_f32 v[52:53], v[6:7], v[12:13] op_sel:[0,1] op_sel_hi:[1,0] neg_lo:[0,1] neg_hi:[0,1]
	v_pk_add_f32 v[6:7], v[6:7], v[12:13] op_sel:[0,1] op_sel_hi:[1,0]
	v_pk_add_f32 v[12:13], v[52:53], v[48:49] op_sel:[0,1] op_sel_hi:[1,0] neg_lo:[0,1] neg_hi:[0,1]
	v_pk_add_f32 v[52:53], v[84:85], v[90:91]
	v_pk_fma_f32 v[8:9], v[52:53], 0.5, v[8:9] op_sel_hi:[1,0,1] neg_lo:[1,0,0] neg_hi:[1,0,0]
	v_pk_add_f32 v[52:53], v[86:87], v[84:85] neg_lo:[0,1] neg_hi:[0,1]
	v_pk_add_f32 v[54:55], v[88:89], v[90:91] neg_lo:[0,1] neg_hi:[0,1]
	v_pk_mul_f32 v[46:47], v[46:47], s[2:3] op_sel_hi:[1,0]
	v_pk_add_f32 v[52:53], v[52:53], v[54:55]
	v_pk_mul_f32 v[10:11], v[10:11], s[6:7] op_sel_hi:[1,0]
	v_pk_add_f32 v[54:55], v[8:9], v[46:47] op_sel:[0,1] op_sel_hi:[1,0]
	v_pk_add_f32 v[8:9], v[8:9], v[46:47] op_sel:[0,1] op_sel_hi:[1,0] neg_lo:[0,1] neg_hi:[0,1]
	v_pk_add_f32 v[6:7], v[6:7], v[48:49] op_sel:[0,1] op_sel_hi:[1,0]
	v_pk_add_f32 v[8:9], v[8:9], v[10:11] op_sel:[0,1] op_sel_hi:[1,0]
	v_pk_add_f32 v[10:11], v[54:55], v[10:11] op_sel:[0,1] op_sel_hi:[1,0] neg_lo:[0,1] neg_hi:[0,1]
	v_mov_b32_e32 v49, v7
	v_mov_b32_e32 v47, v9
	;; [unrolled: 1-line block ×6, first 2 shown]
	v_pk_fma_f32 v[8:9], v[52:53], s[0:1], v[8:9] op_sel_hi:[1,0,1]
	v_pk_fma_f32 v[6:7], v[50:51], s[0:1], v[6:7] op_sel_hi:[1,0,1]
	v_add_u32_e32 v10, 0x800, v150
	v_pk_fma_f32 v[48:49], v[50:51], s[0:1], v[48:49] op_sel_hi:[1,0,1]
	v_pk_fma_f32 v[46:47], v[52:53], s[0:1], v[46:47] op_sel_hi:[1,0,1]
	ds_write2_b64 v10, v[8:9], v[6:7] offset0:101 offset1:220
	v_pk_add_f32 v[6:7], v[36:37], v[94:95]
	v_pk_add_f32 v[8:9], v[30:31], v[96:97] neg_lo:[0,1] neg_hi:[0,1]
	ds_write2_b64 v150, v[48:49], v[46:47] offset0:119 offset1:238
	v_pk_fma_f32 v[6:7], v[6:7], 0.5, v[2:3] op_sel_hi:[1,0,1] neg_lo:[1,0,0] neg_hi:[1,0,0]
	v_pk_mul_f32 v[10:11], v[8:9], s[2:3] op_sel_hi:[1,0]
	v_pk_add_f32 v[12:13], v[36:37], v[94:95] neg_lo:[0,1] neg_hi:[0,1]
	v_pk_add_f32 v[48:49], v[30:31], v[36:37] neg_lo:[0,1] neg_hi:[0,1]
	;; [unrolled: 1-line block ×3, first 2 shown]
	v_pk_mul_f32 v[46:47], v[12:13], s[6:7] op_sel_hi:[1,0]
	v_pk_add_f32 v[48:49], v[48:49], v[50:51]
	v_pk_add_f32 v[50:51], v[6:7], v[10:11] op_sel:[0,1] op_sel_hi:[1,0] neg_lo:[0,1] neg_hi:[0,1]
	v_pk_add_f32 v[6:7], v[6:7], v[10:11] op_sel:[0,1] op_sel_hi:[1,0]
	v_pk_add_f32 v[10:11], v[50:51], v[46:47] op_sel:[0,1] op_sel_hi:[1,0] neg_lo:[0,1] neg_hi:[0,1]
	v_pk_add_f32 v[50:51], v[30:31], v[96:97]
	v_pk_fma_f32 v[2:3], v[50:51], 0.5, v[2:3] op_sel_hi:[1,0,1] neg_lo:[1,0,0] neg_hi:[1,0,0]
	v_pk_add_f32 v[30:31], v[36:37], v[30:31] neg_lo:[0,1] neg_hi:[0,1]
	v_pk_add_f32 v[36:37], v[94:95], v[96:97] neg_lo:[0,1] neg_hi:[0,1]
	v_pk_mul_f32 v[12:13], v[12:13], s[2:3] op_sel_hi:[1,0]
	v_pk_add_f32 v[30:31], v[30:31], v[36:37]
	v_pk_mul_f32 v[8:9], v[8:9], s[6:7] op_sel_hi:[1,0]
	v_pk_add_f32 v[36:37], v[2:3], v[12:13] op_sel:[0,1] op_sel_hi:[1,0]
	v_pk_add_f32 v[2:3], v[2:3], v[12:13] op_sel:[0,1] op_sel_hi:[1,0] neg_lo:[0,1] neg_hi:[0,1]
	v_pk_add_f32 v[6:7], v[6:7], v[46:47] op_sel:[0,1] op_sel_hi:[1,0]
	v_pk_add_f32 v[2:3], v[2:3], v[8:9] op_sel:[0,1] op_sel_hi:[1,0]
	v_pk_add_f32 v[8:9], v[36:37], v[8:9] op_sel:[0,1] op_sel_hi:[1,0] neg_lo:[0,1] neg_hi:[0,1]
	v_mov_b32_e32 v46, v10
	v_mov_b32_e32 v47, v7
	;; [unrolled: 1-line block ×6, first 2 shown]
	v_pk_fma_f32 v[46:47], v[48:49], s[0:1], v[46:47] op_sel_hi:[1,0,1]
	v_pk_fma_f32 v[12:13], v[30:31], s[0:1], v[12:13] op_sel_hi:[1,0,1]
	;; [unrolled: 1-line block ×4, first 2 shown]
	v_add_u32_e32 v8, 0x800, v118
	ds_write2_b64 v118, v[46:47], v[12:13] offset0:119 offset1:238
	ds_write2_b64 v8, v[2:3], v[6:7] offset0:101 offset1:220
	ds_write2_b64 v114, v[34:35], v[42:43] offset0:68 offset1:85
	v_pk_add_f32 v[2:3], v[26:27], v[28:29]
	v_pk_add_f32 v[6:7], v[24:25], v[32:33] neg_lo:[0,1] neg_hi:[0,1]
	v_pk_fma_f32 v[2:3], v[2:3], 0.5, v[4:5] op_sel_hi:[1,0,1] neg_lo:[1,0,0] neg_hi:[1,0,0]
	v_pk_mul_f32 v[8:9], v[6:7], s[2:3] op_sel_hi:[1,0]
	v_pk_add_f32 v[10:11], v[26:27], v[28:29] neg_lo:[0,1] neg_hi:[0,1]
	v_pk_add_f32 v[30:31], v[24:25], v[26:27] neg_lo:[0,1] neg_hi:[0,1]
	;; [unrolled: 1-line block ×3, first 2 shown]
	v_pk_mul_f32 v[12:13], v[10:11], s[6:7] op_sel_hi:[1,0]
	v_pk_add_f32 v[30:31], v[30:31], v[34:35]
	v_pk_add_f32 v[34:35], v[2:3], v[8:9] op_sel:[0,1] op_sel_hi:[1,0] neg_lo:[0,1] neg_hi:[0,1]
	v_pk_add_f32 v[2:3], v[2:3], v[8:9] op_sel:[0,1] op_sel_hi:[1,0]
	v_pk_add_f32 v[8:9], v[34:35], v[12:13] op_sel:[0,1] op_sel_hi:[1,0] neg_lo:[0,1] neg_hi:[0,1]
	v_pk_add_f32 v[34:35], v[24:25], v[32:33]
	v_pk_fma_f32 v[4:5], v[34:35], 0.5, v[4:5] op_sel_hi:[1,0,1] neg_lo:[1,0,0] neg_hi:[1,0,0]
	v_pk_add_f32 v[24:25], v[26:27], v[24:25] neg_lo:[0,1] neg_hi:[0,1]
	v_pk_add_f32 v[26:27], v[28:29], v[32:33] neg_lo:[0,1] neg_hi:[0,1]
	v_pk_mul_f32 v[10:11], v[10:11], s[2:3] op_sel_hi:[1,0]
	v_pk_add_f32 v[24:25], v[24:25], v[26:27]
	v_pk_mul_f32 v[6:7], v[6:7], s[6:7] op_sel_hi:[1,0]
	v_pk_add_f32 v[26:27], v[4:5], v[10:11] op_sel:[0,1] op_sel_hi:[1,0]
	v_pk_add_f32 v[4:5], v[4:5], v[10:11] op_sel:[0,1] op_sel_hi:[1,0] neg_lo:[0,1] neg_hi:[0,1]
	v_mov_b32_e32 v23, v45
	v_pk_add_f32 v[44:45], v[0:1], v[16:17]
	v_pk_add_f32 v[2:3], v[2:3], v[12:13] op_sel:[0,1] op_sel_hi:[1,0]
	v_pk_add_f32 v[4:5], v[4:5], v[6:7] op_sel:[0,1] op_sel_hi:[1,0]
	v_pk_add_f32 v[6:7], v[26:27], v[6:7] op_sel:[0,1] op_sel_hi:[1,0] neg_lo:[0,1] neg_hi:[0,1]
	v_pk_add_f32 v[44:45], v[44:45], v[18:19]
	v_mov_b32_e32 v12, v8
	v_mov_b32_e32 v13, v3
	v_mov_b32_e32 v10, v6
	v_mov_b32_e32 v11, v5
	v_mov_b32_e32 v5, v7
	v_mov_b32_e32 v3, v9
	v_pk_add_f32 v[44:45], v[44:45], v[20:21]
	v_pk_fma_f32 v[12:13], v[30:31], s[0:1], v[12:13] op_sel_hi:[1,0,1]
	v_pk_fma_f32 v[10:11], v[24:25], s[0:1], v[10:11] op_sel_hi:[1,0,1]
	;; [unrolled: 1-line block ×4, first 2 shown]
	v_add_u32_e32 v6, 0x800, v115
	v_pk_add_f32 v[44:45], v[44:45], v[22:23]
	ds_write2_b64 v115, v[12:13], v[10:11] offset0:119 offset1:238
	ds_write2_b64 v6, v[4:5], v[2:3] offset0:101 offset1:220
	ds_write_b64 v114, v[44:45] offset:816
	v_pk_add_f32 v[2:3], v[18:19], v[20:21]
	v_pk_add_f32 v[4:5], v[16:17], v[22:23] neg_lo:[0,1] neg_hi:[0,1]
	v_pk_fma_f32 v[2:3], v[2:3], 0.5, v[0:1] op_sel_hi:[1,0,1] neg_lo:[1,0,0] neg_hi:[1,0,0]
	v_pk_mul_f32 v[6:7], v[4:5], s[2:3] op_sel_hi:[1,0]
	v_pk_add_f32 v[8:9], v[18:19], v[20:21] neg_lo:[0,1] neg_hi:[0,1]
	v_pk_add_f32 v[12:13], v[16:17], v[18:19] neg_lo:[0,1] neg_hi:[0,1]
	;; [unrolled: 1-line block ×3, first 2 shown]
	v_pk_mul_f32 v[10:11], v[8:9], s[6:7] op_sel_hi:[1,0]
	v_pk_add_f32 v[12:13], v[12:13], v[24:25]
	v_pk_add_f32 v[24:25], v[2:3], v[6:7] op_sel:[0,1] op_sel_hi:[1,0] neg_lo:[0,1] neg_hi:[0,1]
	v_pk_add_f32 v[2:3], v[2:3], v[6:7] op_sel:[0,1] op_sel_hi:[1,0]
	v_pk_add_f32 v[6:7], v[24:25], v[10:11] op_sel:[0,1] op_sel_hi:[1,0] neg_lo:[0,1] neg_hi:[0,1]
	v_pk_add_f32 v[24:25], v[16:17], v[22:23]
	v_pk_fma_f32 v[0:1], v[24:25], 0.5, v[0:1] op_sel_hi:[1,0,1] neg_lo:[1,0,0] neg_hi:[1,0,0]
	v_pk_add_f32 v[16:17], v[18:19], v[16:17] neg_lo:[0,1] neg_hi:[0,1]
	v_pk_add_f32 v[18:19], v[20:21], v[22:23] neg_lo:[0,1] neg_hi:[0,1]
	v_pk_mul_f32 v[8:9], v[8:9], s[2:3] op_sel_hi:[1,0]
	v_pk_add_f32 v[16:17], v[16:17], v[18:19]
	v_pk_mul_f32 v[4:5], v[4:5], s[6:7] op_sel_hi:[1,0]
	v_pk_add_f32 v[18:19], v[0:1], v[8:9] op_sel:[0,1] op_sel_hi:[1,0]
	v_pk_add_f32 v[0:1], v[0:1], v[8:9] op_sel:[0,1] op_sel_hi:[1,0] neg_lo:[0,1] neg_hi:[0,1]
	v_pk_add_f32 v[2:3], v[2:3], v[10:11] op_sel:[0,1] op_sel_hi:[1,0]
	v_pk_add_f32 v[0:1], v[0:1], v[4:5] op_sel:[0,1] op_sel_hi:[1,0]
	v_pk_add_f32 v[4:5], v[18:19], v[4:5] op_sel:[0,1] op_sel_hi:[1,0] neg_lo:[0,1] neg_hi:[0,1]
	v_mov_b32_e32 v10, v6
	v_mov_b32_e32 v11, v3
	;; [unrolled: 1-line block ×6, first 2 shown]
	v_pk_fma_f32 v[10:11], v[12:13], s[0:1], v[10:11] op_sel_hi:[1,0,1]
	v_pk_fma_f32 v[8:9], v[16:17], s[0:1], v[8:9] op_sel_hi:[1,0,1]
	;; [unrolled: 1-line block ×4, first 2 shown]
	v_add_u32_e32 v4, 0x800, v103
	ds_write2_b64 v103, v[10:11], v[8:9] offset0:119 offset1:238
	ds_write2_b64 v4, v[0:1], v[2:3] offset0:101 offset1:220
	s_waitcnt lgkmcnt(0)
	; wave barrier
	s_waitcnt lgkmcnt(0)
	buffer_load_dword v12, off, s[76:79], 0 offset:244 ; 4-byte Folded Reload
	ds_read2_b64 v[8:11], v114 offset1:17
	v_mov_b32_e32 v0, v15
	v_accvgpr_read_b32 v2, a46
	v_mad_u64_u32 v[0:1], s[0:1], s7, v102, v[0:1]
	v_accvgpr_read_b32 v3, a47
	v_mov_b32_e32 v15, v0
	s_waitcnt lgkmcnt(0)
	v_mul_f32_e32 v0, v3, v9
	v_fmac_f32_e32 v0, v2, v8
	s_mov_b32 s0, 0x1b89401c
	v_cvt_f64_f32_e32 v[0:1], v0
	s_mov_b32 s1, 0x3f5b8940
	v_mul_f64 v[0:1], v[0:1], s[0:1]
	v_cvt_f32_f64_e32 v4, v[0:1]
	v_mul_f32_e32 v0, v3, v8
	v_fma_f32 v0, v2, v9, -v0
	v_cvt_f64_f32_e32 v[0:1], v0
	v_mul_f64 v[0:1], v[0:1], s[0:1]
	v_accvgpr_read_b32 v6, a32
	v_cvt_f32_f64_e32 v5, v[0:1]
	v_mad_u64_u32 v[0:1], s[2:3], s4, v6, 0
	v_mov_b32_e32 v2, v1
	v_mad_u64_u32 v[2:3], s[2:3], s5, v6, v[2:3]
	v_mov_b32_e32 v1, v2
	v_lshlrev_b64 v[2:3], 3, v[14:15]
	v_mov_b32_e32 v6, s11
	v_add_co_u32_e32 v9, vcc, s10, v2
	v_addc_co_u32_e32 v26, vcc, v6, v3, vcc
	v_lshlrev_b64 v[6:7], 3, v[0:1]
	ds_read2_b64 v[0:3], v114 offset0:68 offset1:85
	v_add_co_u32_e32 v6, vcc, v9, v6
	v_addc_co_u32_e32 v7, vcc, v26, v7, vcc
	s_waitcnt vmcnt(0)
	v_accvgpr_read_b32 v13, a219            ;  Reload Reuse
	global_store_dwordx2 v[6:7], v[4:5], off
	s_waitcnt lgkmcnt(0)
	v_mul_f32_e32 v4, v13, v3
	v_mov_b32_e32 v8, 0x2a8
	v_mad_u64_u32 v[6:7], s[2:3], s4, v8, v[6:7]
	s_mul_i32 s2, s5, 0x2a8
	v_add_u32_e32 v7, s2, v7
	v_mov_b32_e32 v27, 0xfffff098
	s_mul_i32 s3, s5, 0xfffff098
	s_sub_i32 s3, s3, s4
	v_fmac_f32_e32 v4, v12, v2
	v_mul_f32_e32 v2, v13, v2
	v_fma_f32 v2, v12, v3, -v2
	v_cvt_f64_f32_e32 v[4:5], v4
	v_cvt_f64_f32_e32 v[2:3], v2
	ds_read2_b64 v[12:15], v114 offset0:170 offset1:187
	v_mul_f64 v[4:5], v[4:5], s[0:1]
	v_mul_f64 v[2:3], v[2:3], s[0:1]
	v_cvt_f32_f64_e32 v4, v[4:5]
	v_cvt_f32_f64_e32 v5, v[2:3]
	global_store_dwordx2 v[6:7], v[4:5], off
	v_accvgpr_read_b32 v4, a28
	v_accvgpr_read_b32 v5, a29
	s_waitcnt lgkmcnt(0)
	v_mul_f32_e32 v2, v5, v13
	v_fmac_f32_e32 v2, v4, v12
	v_cvt_f64_f32_e32 v[2:3], v2
	v_mul_f64 v[2:3], v[2:3], s[0:1]
	v_cvt_f32_f64_e32 v16, v[2:3]
	v_mul_f32_e32 v2, v5, v12
	v_fma_f32 v2, v4, v13, -v2
	v_cvt_f64_f32_e32 v[2:3], v2
	v_mul_f64 v[2:3], v[2:3], s[0:1]
	v_cvt_f32_f64_e32 v17, v[2:3]
	ds_read2_b64 v[2:5], v114 offset0:238 offset1:255
	v_mad_u64_u32 v[6:7], s[6:7], s4, v8, v[6:7]
	v_add_u32_e32 v7, s2, v7
	global_store_dwordx2 v[6:7], v[16:17], off
	v_accvgpr_read_b32 v16, a50
	v_accvgpr_read_b32 v17, a51
	s_waitcnt lgkmcnt(0)
	v_mul_f32_e32 v12, v17, v5
	v_fmac_f32_e32 v12, v16, v4
	v_mul_f32_e32 v4, v17, v4
	v_fma_f32 v4, v16, v5, -v4
	v_cvt_f64_f32_e32 v[12:13], v12
	v_cvt_f64_f32_e32 v[4:5], v4
	v_mul_f64 v[12:13], v[12:13], s[0:1]
	v_mul_f64 v[4:5], v[4:5], s[0:1]
	v_mad_u64_u32 v[20:21], s[6:7], s4, v8, v[6:7]
	v_cvt_f32_f64_e32 v12, v[12:13]
	v_cvt_f32_f64_e32 v13, v[4:5]
	v_add_u32_e32 v21, s2, v21
	global_store_dwordx2 v[20:21], v[12:13], off
	ds_read2_b64 v[16:19], v38 offset0:84 offset1:101
	buffer_load_dword v6, off, s[76:79], 0 offset:228 ; 4-byte Folded Reload
	buffer_load_dword v7, off, s[76:79], 0 offset:232 ; 4-byte Folded Reload
	s_waitcnt vmcnt(0) lgkmcnt(0)
	v_mul_f32_e32 v4, v7, v17
	v_fmac_f32_e32 v4, v6, v16
	v_cvt_f64_f32_e32 v[4:5], v4
	v_mul_f64 v[4:5], v[4:5], s[0:1]
	v_cvt_f32_f64_e32 v12, v[4:5]
	v_mul_f32_e32 v4, v7, v16
	v_fma_f32 v4, v6, v17, -v4
	v_cvt_f64_f32_e32 v[4:5], v4
	v_mul_f64 v[4:5], v[4:5], s[0:1]
	v_mad_u64_u32 v[16:17], s[6:7], s4, v8, v[20:21]
	v_cvt_f32_f64_e32 v13, v[4:5]
	v_add_u32_e32 v17, s2, v17
	global_store_dwordx2 v[16:17], v[12:13], off
	ds_read2_b64 v[4:7], v38 offset0:152 offset1:169
	buffer_load_dword v20, off, s[76:79], 0 offset:252 ; 4-byte Folded Reload
	buffer_load_dword v21, off, s[76:79], 0 offset:256 ; 4-byte Folded Reload
	s_waitcnt vmcnt(0) lgkmcnt(0)
	v_mul_f32_e32 v12, v21, v7
	v_fmac_f32_e32 v12, v20, v6
	v_mul_f32_e32 v6, v21, v6
	v_fma_f32 v6, v20, v7, -v6
	v_cvt_f64_f32_e32 v[12:13], v12
	v_cvt_f64_f32_e32 v[6:7], v6
	v_mul_f64 v[12:13], v[12:13], s[0:1]
	v_mul_f64 v[6:7], v[6:7], s[0:1]
	v_cvt_f32_f64_e32 v12, v[12:13]
	v_cvt_f32_f64_e32 v13, v[6:7]
	v_mad_u64_u32 v[6:7], s[6:7], s4, v8, v[16:17]
	v_add_u32_e32 v7, s2, v7
	global_store_dwordx2 v[6:7], v[12:13], off
	ds_read2_b64 v[20:23], v40 offset0:126 offset1:143
	buffer_load_dword v16, off, s[76:79], 0 offset:236 ; 4-byte Folded Reload
	buffer_load_dword v17, off, s[76:79], 0 offset:240 ; 4-byte Folded Reload
	v_mad_u64_u32 v[6:7], s[6:7], s4, v8, v[6:7]
	v_add_u32_e32 v7, s2, v7
	s_waitcnt vmcnt(0) lgkmcnt(0)
	v_mul_f32_e32 v12, v17, v21
	v_fmac_f32_e32 v12, v16, v20
	v_cvt_f64_f32_e32 v[12:13], v12
	v_mul_f64 v[12:13], v[12:13], s[0:1]
	v_cvt_f32_f64_e32 v12, v[12:13]
	v_mul_f32_e32 v13, v17, v20
	v_fma_f32 v13, v16, v21, -v13
	v_cvt_f64_f32_e32 v[16:17], v13
	v_mul_f64 v[16:17], v[16:17], s[0:1]
	v_cvt_f32_f64_e32 v13, v[16:17]
	global_store_dwordx2 v[6:7], v[12:13], off
	buffer_load_dword v20, off, s[76:79], 0 offset:220 ; 4-byte Folded Reload
	buffer_load_dword v21, off, s[76:79], 0 offset:224 ; 4-byte Folded Reload
	v_mad_u64_u32 v[6:7], s[6:7], s4, v27, v[6:7]
	v_add_u32_e32 v7, s3, v7
	s_waitcnt vmcnt(0)
	v_mul_f32_e32 v12, v21, v11
	v_fmac_f32_e32 v12, v20, v10
	v_mul_f32_e32 v10, v21, v10
	v_fma_f32 v10, v20, v11, -v10
	v_cvt_f64_f32_e32 v[12:13], v12
	v_cvt_f64_f32_e32 v[10:11], v10
	v_mul_f64 v[12:13], v[12:13], s[0:1]
	v_mul_f64 v[10:11], v[10:11], s[0:1]
	v_cvt_f32_f64_e32 v16, v[12:13]
	v_cvt_f32_f64_e32 v17, v[10:11]
	global_store_dwordx2 v[6:7], v[16:17], off
	ds_read2_b64 v[10:13], v114 offset0:102 offset1:119
	buffer_load_dword v20, off, s[76:79], 0 offset:212 ; 4-byte Folded Reload
	buffer_load_dword v21, off, s[76:79], 0 offset:216 ; 4-byte Folded Reload
	v_mad_u64_u32 v[6:7], s[6:7], s4, v8, v[6:7]
	v_add_u32_e32 v7, s2, v7
	s_waitcnt vmcnt(0) lgkmcnt(0)
	v_mul_f32_e32 v16, v21, v11
	v_fmac_f32_e32 v16, v20, v10
	v_mul_f32_e32 v10, v21, v10
	v_fma_f32 v10, v20, v11, -v10
	v_cvt_f64_f32_e32 v[16:17], v16
	v_cvt_f64_f32_e32 v[10:11], v10
	v_mul_f64 v[16:17], v[16:17], s[0:1]
	v_mul_f64 v[10:11], v[10:11], s[0:1]
	v_cvt_f32_f64_e32 v16, v[16:17]
	v_cvt_f32_f64_e32 v17, v[10:11]
	global_store_dwordx2 v[6:7], v[16:17], off
	buffer_load_dword v16, off, s[76:79], 0 offset:204 ; 4-byte Folded Reload
	s_nop 0
	buffer_load_dword v17, off, s[76:79], 0 offset:208 ; 4-byte Folded Reload
	v_mad_u64_u32 v[6:7], s[6:7], s4, v8, v[6:7]
	v_add_u32_e32 v7, s2, v7
	s_waitcnt vmcnt(0)
	v_mul_f32_e32 v10, v17, v15
	v_fmac_f32_e32 v10, v16, v14
	v_cvt_f64_f32_e32 v[10:11], v10
	v_mul_f64 v[10:11], v[10:11], s[0:1]
	v_cvt_f32_f64_e32 v10, v[10:11]
	v_mul_f32_e32 v11, v17, v14
	v_fma_f32 v11, v16, v15, -v11
	v_cvt_f64_f32_e32 v[14:15], v11
	v_mul_f64 v[14:15], v[14:15], s[0:1]
	v_cvt_f32_f64_e32 v11, v[14:15]
	global_store_dwordx2 v[6:7], v[10:11], off
	ds_read2_b64 v[14:17], v38 offset0:16 offset1:33
	buffer_load_dword v20, off, s[76:79], 0 offset:196 ; 4-byte Folded Reload
	buffer_load_dword v21, off, s[76:79], 0 offset:200 ; 4-byte Folded Reload
	v_mad_u64_u32 v[6:7], s[6:7], s4, v8, v[6:7]
	v_add_u32_e32 v7, s2, v7
	s_waitcnt vmcnt(0) lgkmcnt(0)
	v_mul_f32_e32 v10, v21, v15
	v_fmac_f32_e32 v10, v20, v14
	v_cvt_f64_f32_e32 v[10:11], v10
	v_mul_f64 v[10:11], v[10:11], s[0:1]
	v_cvt_f32_f64_e32 v10, v[10:11]
	v_mul_f32_e32 v11, v21, v14
	v_fma_f32 v11, v20, v15, -v11
	v_cvt_f64_f32_e32 v[14:15], v11
	v_mul_f64 v[14:15], v[14:15], s[0:1]
	v_cvt_f32_f64_e32 v11, v[14:15]
	global_store_dwordx2 v[6:7], v[10:11], off
	buffer_load_dword v14, off, s[76:79], 0 offset:188 ; 4-byte Folded Reload
	buffer_load_dword v15, off, s[76:79], 0 offset:192 ; 4-byte Folded Reload
	v_mad_u64_u32 v[6:7], s[6:7], s4, v8, v[6:7]
	v_add_u32_e32 v7, s2, v7
	s_waitcnt vmcnt(0)
	v_mul_f32_e32 v10, v15, v19
	v_fmac_f32_e32 v10, v14, v18
	v_cvt_f64_f32_e32 v[10:11], v10
	v_mul_f64 v[10:11], v[10:11], s[0:1]
	v_cvt_f32_f64_e32 v10, v[10:11]
	v_mul_f32_e32 v11, v15, v18
	v_fma_f32 v11, v14, v19, -v11
	v_cvt_f64_f32_e32 v[14:15], v11
	v_mul_f64 v[14:15], v[14:15], s[0:1]
	v_cvt_f32_f64_e32 v11, v[14:15]
	global_store_dwordx2 v[6:7], v[10:11], off
	ds_read2_b64 v[18:21], v38 offset0:186 offset1:203
	buffer_load_dword v14, off, s[76:79], 0 offset:172 ; 4-byte Folded Reload
	buffer_load_dword v15, off, s[76:79], 0 offset:176 ; 4-byte Folded Reload
	v_mad_u64_u32 v[6:7], s[6:7], s4, v8, v[6:7]
	v_add_u32_e32 v7, s2, v7
	s_waitcnt vmcnt(0) lgkmcnt(0)
	v_mul_f32_e32 v10, v15, v19
	v_fmac_f32_e32 v10, v14, v18
	v_cvt_f64_f32_e32 v[10:11], v10
	v_mul_f64 v[10:11], v[10:11], s[0:1]
	v_cvt_f32_f64_e32 v10, v[10:11]
	v_mul_f32_e32 v11, v15, v18
	v_fma_f32 v11, v14, v19, -v11
	v_cvt_f64_f32_e32 v[14:15], v11
	v_mul_f64 v[14:15], v[14:15], s[0:1]
	v_cvt_f32_f64_e32 v11, v[14:15]
	global_store_dwordx2 v[6:7], v[10:11], off
	buffer_load_dword v14, off, s[76:79], 0 offset:180 ; 4-byte Folded Reload
	;; [unrolled: 33-line block ×3, first 2 shown]
	buffer_load_dword v19, off, s[76:79], 0 offset:136 ; 4-byte Folded Reload
	v_mad_u64_u32 v[6:7], s[6:7], s4, v8, v[6:7]
	v_add_u32_e32 v7, s2, v7
	s_waitcnt vmcnt(0)
	v_mul_f32_e32 v10, v19, v13
	v_fmac_f32_e32 v10, v18, v12
	v_cvt_f64_f32_e32 v[10:11], v10
	v_mul_f64 v[10:11], v[10:11], s[0:1]
	v_cvt_f32_f64_e32 v14, v[10:11]
	v_mul_f32_e32 v10, v19, v12
	v_fma_f32 v10, v18, v13, -v10
	v_cvt_f64_f32_e32 v[10:11], v10
	v_mul_f64 v[10:11], v[10:11], s[0:1]
	v_cvt_f32_f64_e32 v15, v[10:11]
	global_store_dwordx2 v[6:7], v[14:15], off
	ds_read2_b64 v[10:13], v114 offset0:204 offset1:221
	buffer_load_dword v18, off, s[76:79], 0 offset:164 ; 4-byte Folded Reload
	buffer_load_dword v19, off, s[76:79], 0 offset:168 ; 4-byte Folded Reload
	v_mad_u64_u32 v[6:7], s[6:7], s4, v8, v[6:7]
	v_add_u32_e32 v7, s2, v7
	s_waitcnt vmcnt(0) lgkmcnt(0)
	v_mul_f32_e32 v14, v19, v11
	v_fmac_f32_e32 v14, v18, v10
	v_mul_f32_e32 v10, v19, v10
	v_fma_f32 v10, v18, v11, -v10
	v_cvt_f64_f32_e32 v[14:15], v14
	v_cvt_f64_f32_e32 v[10:11], v10
	v_mul_f64 v[14:15], v[14:15], s[0:1]
	v_mul_f64 v[10:11], v[10:11], s[0:1]
	v_cvt_f32_f64_e32 v14, v[14:15]
	v_cvt_f32_f64_e32 v15, v[10:11]
	global_store_dwordx2 v[6:7], v[14:15], off
	buffer_load_dword v14, off, s[76:79], 0 offset:156 ; 4-byte Folded Reload
	s_nop 0
	buffer_load_dword v15, off, s[76:79], 0 offset:160 ; 4-byte Folded Reload
	v_mad_u64_u32 v[6:7], s[6:7], s4, v8, v[6:7]
	v_add_u32_e32 v7, s2, v7
	s_waitcnt vmcnt(0)
	v_mul_f32_e32 v10, v15, v17
	v_fmac_f32_e32 v10, v14, v16
	v_cvt_f64_f32_e32 v[10:11], v10
	v_mul_f64 v[10:11], v[10:11], s[0:1]
	v_cvt_f32_f64_e32 v10, v[10:11]
	v_mul_f32_e32 v11, v15, v16
	v_fma_f32 v11, v14, v17, -v11
	v_cvt_f64_f32_e32 v[14:15], v11
	v_mul_f64 v[14:15], v[14:15], s[0:1]
	v_cvt_f32_f64_e32 v11, v[14:15]
	global_store_dwordx2 v[6:7], v[10:11], off
	ds_read2_b64 v[14:17], v38 offset0:118 offset1:135
	buffer_load_dword v18, off, s[76:79], 0 offset:140 ; 4-byte Folded Reload
	buffer_load_dword v19, off, s[76:79], 0 offset:144 ; 4-byte Folded Reload
	v_mad_u64_u32 v[6:7], s[6:7], s4, v8, v[6:7]
	v_add_u32_e32 v7, s2, v7
	s_waitcnt vmcnt(0) lgkmcnt(0)
	v_mul_f32_e32 v10, v19, v15
	v_fmac_f32_e32 v10, v18, v14
	v_cvt_f64_f32_e32 v[10:11], v10
	v_mul_f64 v[10:11], v[10:11], s[0:1]
	v_cvt_f32_f64_e32 v10, v[10:11]
	v_mul_f32_e32 v11, v19, v14
	v_fma_f32 v11, v18, v15, -v11
	v_cvt_f64_f32_e32 v[14:15], v11
	v_mul_f64 v[14:15], v[14:15], s[0:1]
	v_cvt_f32_f64_e32 v11, v[14:15]
	global_store_dwordx2 v[6:7], v[10:11], off
	buffer_load_dword v14, off, s[76:79], 0 offset:124 ; 4-byte Folded Reload
	buffer_load_dword v15, off, s[76:79], 0 offset:128 ; 4-byte Folded Reload
	v_mad_u64_u32 v[6:7], s[6:7], s4, v8, v[6:7]
	v_add_u32_e32 v7, s2, v7
	s_waitcnt vmcnt(0)
	v_mul_f32_e32 v10, v15, v21
	v_fmac_f32_e32 v10, v14, v20
	v_cvt_f64_f32_e32 v[10:11], v10
	v_mul_f64 v[10:11], v[10:11], s[0:1]
	v_cvt_f32_f64_e32 v10, v[10:11]
	v_mul_f32_e32 v11, v15, v20
	v_fma_f32 v11, v14, v21, -v11
	v_cvt_f64_f32_e32 v[14:15], v11
	v_mul_f64 v[14:15], v[14:15], s[0:1]
	v_cvt_f32_f64_e32 v11, v[14:15]
	global_store_dwordx2 v[6:7], v[10:11], off
	ds_read2_b64 v[18:21], v39 offset0:32 offset1:49
	buffer_load_dword v14, off, s[76:79], 0 offset:116 ; 4-byte Folded Reload
	buffer_load_dword v15, off, s[76:79], 0 offset:120 ; 4-byte Folded Reload
	s_waitcnt vmcnt(0) lgkmcnt(0)
	v_mul_f32_e32 v10, v15, v19
	v_fmac_f32_e32 v10, v14, v18
	v_cvt_f64_f32_e32 v[10:11], v10
	v_mul_f64 v[10:11], v[10:11], s[0:1]
	v_cvt_f32_f64_e32 v10, v[10:11]
	v_mul_f32_e32 v11, v15, v18
	v_fma_f32 v11, v14, v19, -v11
	v_cvt_f64_f32_e32 v[14:15], v11
	v_mul_f64 v[14:15], v[14:15], s[0:1]
	v_accvgpr_read_b32 v19, a1
	v_cvt_f32_f64_e32 v11, v[14:15]
	v_mad_u64_u32 v[14:15], s[6:7], s4, v19, 0
	v_mov_b32_e32 v18, v15
	v_mad_u64_u32 v[18:19], s[6:7], s5, v19, v[18:19]
	v_mov_b32_e32 v15, v18
	v_lshlrev_b64 v[14:15], 3, v[14:15]
	v_add_co_u32_e32 v14, vcc, v9, v14
	v_addc_co_u32_e32 v15, vcc, v26, v15, vcc
	global_store_dwordx2 v[14:15], v[10:11], off
	buffer_load_dword v14, off, s[76:79], 0 offset:108 ; 4-byte Folded Reload
	s_nop 0
	buffer_load_dword v15, off, s[76:79], 0 offset:112 ; 4-byte Folded Reload
	s_mulk_i32 s5, 0xf340
	s_sub_i32 s5, s5, s4
	s_waitcnt vmcnt(0)
	v_mul_f32_e32 v9, v15, v25
	v_fmac_f32_e32 v9, v14, v24
	v_cvt_f64_f32_e32 v[10:11], v9
	v_mul_f32_e32 v9, v15, v24
	v_fma_f32 v9, v14, v25, -v9
	v_cvt_f64_f32_e32 v[14:15], v9
	v_mov_b32_e32 v9, 0xfffff340
	v_mul_f64 v[10:11], v[10:11], s[0:1]
	v_mul_f64 v[14:15], v[14:15], s[0:1]
	v_mad_u64_u32 v[6:7], s[6:7], s4, v9, v[6:7]
	v_cvt_f32_f64_e32 v10, v[10:11]
	v_cvt_f32_f64_e32 v11, v[14:15]
	v_add_u32_e32 v7, s5, v7
	global_store_dwordx2 v[6:7], v[10:11], off
	ds_read2_b64 v[22:25], v114 offset0:136 offset1:153
	buffer_load_dword v14, off, s[76:79], 0 offset:100 ; 4-byte Folded Reload
	buffer_load_dword v15, off, s[76:79], 0 offset:104 ; 4-byte Folded Reload
	v_mad_u64_u32 v[6:7], s[6:7], s4, v8, v[6:7]
	v_add_u32_e32 v7, s2, v7
	s_waitcnt vmcnt(0) lgkmcnt(0)
	v_mul_f32_e32 v9, v15, v23
	v_fmac_f32_e32 v9, v14, v22
	v_cvt_f64_f32_e32 v[10:11], v9
	v_mul_f32_e32 v9, v15, v22
	v_fma_f32 v9, v14, v23, -v9
	v_cvt_f64_f32_e32 v[14:15], v9
	v_mul_f64 v[10:11], v[10:11], s[0:1]
	v_mul_f64 v[14:15], v[14:15], s[0:1]
	v_cvt_f32_f64_e32 v10, v[10:11]
	v_cvt_f32_f64_e32 v11, v[14:15]
	global_store_dwordx2 v[6:7], v[10:11], off
	buffer_load_dword v18, off, s[76:79], 0 offset:92 ; 4-byte Folded Reload
	buffer_load_dword v19, off, s[76:79], 0 offset:96 ; 4-byte Folded Reload
	v_mad_u64_u32 v[6:7], s[6:7], s4, v8, v[6:7]
	v_add_u32_e32 v7, s2, v7
	s_waitcnt vmcnt(0)
	v_mul_f32_e32 v9, v19, v13
	v_fmac_f32_e32 v9, v18, v12
	v_cvt_f64_f32_e32 v[10:11], v9
	v_mul_f32_e32 v9, v19, v12
	v_mul_f64 v[10:11], v[10:11], s[0:1]
	v_fma_f32 v9, v18, v13, -v9
	v_cvt_f32_f64_e32 v14, v[10:11]
	v_cvt_f64_f32_e32 v[10:11], v9
	v_mul_f64 v[10:11], v[10:11], s[0:1]
	v_cvt_f32_f64_e32 v15, v[10:11]
	global_store_dwordx2 v[6:7], v[14:15], off
	ds_read2_b64 v[10:13], v38 offset0:50 offset1:67
	buffer_load_dword v18, off, s[76:79], 0 offset:84 ; 4-byte Folded Reload
	buffer_load_dword v19, off, s[76:79], 0 offset:88 ; 4-byte Folded Reload
	v_mad_u64_u32 v[6:7], s[6:7], s4, v8, v[6:7]
	v_add_u32_e32 v7, s2, v7
	s_waitcnt vmcnt(0) lgkmcnt(0)
	v_mul_f32_e32 v9, v19, v11
	v_fmac_f32_e32 v9, v18, v10
	v_cvt_f64_f32_e32 v[14:15], v9
	v_mul_f32_e32 v9, v19, v10
	v_fma_f32 v9, v18, v11, -v9
	v_cvt_f64_f32_e32 v[10:11], v9
	v_mul_f64 v[14:15], v[14:15], s[0:1]
	v_mul_f64 v[10:11], v[10:11], s[0:1]
	v_cvt_f32_f64_e32 v14, v[14:15]
	v_cvt_f32_f64_e32 v15, v[10:11]
	global_store_dwordx2 v[6:7], v[14:15], off
	buffer_load_dword v14, off, s[76:79], 0 offset:76 ; 4-byte Folded Reload
	s_nop 0
	buffer_load_dword v15, off, s[76:79], 0 offset:80 ; 4-byte Folded Reload
	v_mad_u64_u32 v[6:7], s[6:7], s4, v8, v[6:7]
	v_add_u32_e32 v7, s2, v7
	s_waitcnt vmcnt(0)
	v_mul_f32_e32 v9, v15, v17
	v_fmac_f32_e32 v9, v14, v16
	v_cvt_f64_f32_e32 v[10:11], v9
	v_mul_f32_e32 v9, v15, v16
	v_fma_f32 v9, v14, v17, -v9
	v_cvt_f64_f32_e32 v[14:15], v9
	v_mul_f64 v[10:11], v[10:11], s[0:1]
	v_mul_f64 v[14:15], v[14:15], s[0:1]
	v_cvt_f32_f64_e32 v10, v[10:11]
	v_cvt_f32_f64_e32 v11, v[14:15]
	global_store_dwordx2 v[6:7], v[10:11], off
	ds_read2_b64 v[14:17], v38 offset0:220 offset1:237
	buffer_load_dword v18, off, s[76:79], 0 offset:68 ; 4-byte Folded Reload
	buffer_load_dword v19, off, s[76:79], 0 offset:72 ; 4-byte Folded Reload
	v_mad_u64_u32 v[6:7], s[6:7], s4, v8, v[6:7]
	v_add_u32_e32 v7, s2, v7
	s_waitcnt vmcnt(0) lgkmcnt(0)
	v_mul_f32_e32 v9, v19, v15
	v_fmac_f32_e32 v9, v18, v14
	v_cvt_f64_f32_e32 v[10:11], v9
	v_mul_f32_e32 v9, v19, v14
	v_fma_f32 v9, v18, v15, -v9
	v_cvt_f64_f32_e32 v[14:15], v9
	v_mul_f64 v[10:11], v[10:11], s[0:1]
	v_mul_f64 v[14:15], v[14:15], s[0:1]
	v_cvt_f32_f64_e32 v10, v[10:11]
	v_cvt_f32_f64_e32 v11, v[14:15]
	global_store_dwordx2 v[6:7], v[10:11], off
	buffer_load_dword v14, off, s[76:79], 0 offset:60 ; 4-byte Folded Reload
	buffer_load_dword v15, off, s[76:79], 0 offset:64 ; 4-byte Folded Reload
	v_mad_u64_u32 v[6:7], s[6:7], s4, v8, v[6:7]
	v_add_u32_e32 v7, s2, v7
	s_waitcnt vmcnt(0)
	v_mul_f32_e32 v9, v15, v21
	v_fmac_f32_e32 v9, v14, v20
	v_cvt_f64_f32_e32 v[10:11], v9
	v_mul_f32_e32 v9, v15, v20
	v_fma_f32 v9, v14, v21, -v9
	v_cvt_f64_f32_e32 v[14:15], v9
	v_mul_f64 v[10:11], v[10:11], s[0:1]
	v_mul_f64 v[14:15], v[14:15], s[0:1]
	v_cvt_f32_f64_e32 v10, v[10:11]
	v_cvt_f32_f64_e32 v11, v[14:15]
	global_store_dwordx2 v[6:7], v[10:11], off
	buffer_load_dword v14, off, s[76:79], 0 offset:52 ; 4-byte Folded Reload
	buffer_load_dword v15, off, s[76:79], 0 offset:56 ; 4-byte Folded Reload
	s_waitcnt vmcnt(0)
	v_mul_f32_e32 v9, v15, v1
	v_fmac_f32_e32 v9, v14, v0
	v_mul_f32_e32 v0, v15, v0
	v_fma_f32 v0, v14, v1, -v0
	v_cvt_f64_f32_e32 v[10:11], v9
	v_cvt_f64_f32_e32 v[0:1], v0
	v_mul_f64 v[10:11], v[10:11], s[0:1]
	v_mul_f64 v[0:1], v[0:1], s[0:1]
	v_cvt_f32_f64_e32 v10, v[10:11]
	v_cvt_f32_f64_e32 v11, v[0:1]
	v_mad_u64_u32 v[0:1], s[6:7], s4, v27, v[6:7]
	v_add_u32_e32 v1, s3, v1
	global_store_dwordx2 v[0:1], v[10:11], off
	buffer_load_dword v10, off, s[76:79], 0 offset:44 ; 4-byte Folded Reload
	s_nop 0
	buffer_load_dword v11, off, s[76:79], 0 offset:48 ; 4-byte Folded Reload
	v_mad_u64_u32 v[0:1], s[6:7], s4, v8, v[0:1]
	v_add_u32_e32 v1, s2, v1
	s_waitcnt vmcnt(0)
	v_mul_f32_e32 v6, v11, v25
	v_fmac_f32_e32 v6, v10, v24
	v_cvt_f64_f32_e32 v[6:7], v6
	v_mul_f64 v[6:7], v[6:7], s[0:1]
	v_cvt_f32_f64_e32 v6, v[6:7]
	v_mul_f32_e32 v7, v11, v24
	v_fma_f32 v7, v10, v25, -v7
	v_cvt_f64_f32_e32 v[10:11], v7
	v_mul_f64 v[10:11], v[10:11], s[0:1]
	v_cvt_f32_f64_e32 v7, v[10:11]
	global_store_dwordx2 v[0:1], v[6:7], off
	buffer_load_dword v10, off, s[76:79], 0 offset:36 ; 4-byte Folded Reload
	buffer_load_dword v11, off, s[76:79], 0 offset:40 ; 4-byte Folded Reload
	v_mad_u64_u32 v[0:1], s[6:7], s4, v8, v[0:1]
	v_add_u32_e32 v1, s2, v1
	s_waitcnt vmcnt(0)
	v_mul_f32_e32 v6, v11, v3
	v_fmac_f32_e32 v6, v10, v2
	v_mul_f32_e32 v2, v11, v2
	v_fma_f32 v2, v10, v3, -v2
	v_cvt_f64_f32_e32 v[6:7], v6
	v_cvt_f64_f32_e32 v[2:3], v2
	v_mul_f64 v[6:7], v[6:7], s[0:1]
	v_mul_f64 v[2:3], v[2:3], s[0:1]
	v_cvt_f32_f64_e32 v6, v[6:7]
	v_cvt_f32_f64_e32 v7, v[2:3]
	global_store_dwordx2 v[0:1], v[6:7], off
	buffer_load_dword v6, off, s[76:79], 0 offset:28 ; 4-byte Folded Reload
	s_nop 0
	buffer_load_dword v7, off, s[76:79], 0 offset:32 ; 4-byte Folded Reload
	v_mad_u64_u32 v[0:1], s[6:7], s4, v8, v[0:1]
	v_add_u32_e32 v1, s2, v1
	s_waitcnt vmcnt(0)
	v_mul_f32_e32 v2, v7, v13
	v_fmac_f32_e32 v2, v6, v12
	v_cvt_f64_f32_e32 v[2:3], v2
	v_mul_f64 v[2:3], v[2:3], s[0:1]
	v_cvt_f32_f64_e32 v2, v[2:3]
	v_mul_f32_e32 v3, v7, v12
	v_fma_f32 v3, v6, v13, -v3
	v_cvt_f64_f32_e32 v[6:7], v3
	v_mul_f64 v[6:7], v[6:7], s[0:1]
	v_cvt_f32_f64_e32 v3, v[6:7]
	global_store_dwordx2 v[0:1], v[2:3], off
	buffer_load_dword v6, off, s[76:79], 0 offset:20 ; 4-byte Folded Reload
	buffer_load_dword v7, off, s[76:79], 0 offset:24 ; 4-byte Folded Reload
	v_mad_u64_u32 v[0:1], s[6:7], s4, v8, v[0:1]
	v_add_u32_e32 v1, s2, v1
	s_waitcnt vmcnt(0)
	v_mul_f32_e32 v2, v7, v5
	v_fmac_f32_e32 v2, v6, v4
	v_cvt_f64_f32_e32 v[2:3], v2
	v_mul_f64 v[2:3], v[2:3], s[0:1]
	v_cvt_f32_f64_e32 v2, v[2:3]
	v_mul_f32_e32 v3, v7, v4
	v_fma_f32 v3, v6, v5, -v3
	v_cvt_f64_f32_e32 v[4:5], v3
	v_mul_f64 v[4:5], v[4:5], s[0:1]
	v_cvt_f32_f64_e32 v3, v[4:5]
	global_store_dwordx2 v[0:1], v[2:3], off
	buffer_load_dword v4, off, s[76:79], 0 offset:12 ; 4-byte Folded Reload
	buffer_load_dword v5, off, s[76:79], 0 offset:16 ; 4-byte Folded Reload
	v_mad_u64_u32 v[0:1], s[6:7], s4, v8, v[0:1]
	v_add_u32_e32 v1, s2, v1
	s_waitcnt vmcnt(0)
	v_mul_f32_e32 v2, v5, v17
	v_fmac_f32_e32 v2, v4, v16
	v_cvt_f64_f32_e32 v[2:3], v2
	v_mul_f64 v[2:3], v[2:3], s[0:1]
	v_cvt_f32_f64_e32 v2, v[2:3]
	v_mul_f32_e32 v3, v5, v16
	v_fma_f32 v3, v4, v17, -v3
	v_cvt_f64_f32_e32 v[4:5], v3
	v_mul_f64 v[4:5], v[4:5], s[0:1]
	v_cvt_f32_f64_e32 v3, v[4:5]
	global_store_dwordx2 v[0:1], v[2:3], off
	ds_read_b64 v[4:5], v114 offset:4624
	buffer_load_dword v6, off, s[76:79], 0 offset:4 ; 4-byte Folded Reload
	buffer_load_dword v7, off, s[76:79], 0 offset:8 ; 4-byte Folded Reload
	s_waitcnt vmcnt(0) lgkmcnt(0)
	v_mul_f32_e32 v2, v7, v5
	v_fmac_f32_e32 v2, v6, v4
	v_cvt_f64_f32_e32 v[2:3], v2
	v_mul_f64 v[2:3], v[2:3], s[0:1]
	v_cvt_f32_f64_e32 v2, v[2:3]
	v_mul_f32_e32 v3, v7, v4
	v_fma_f32 v3, v6, v5, -v3
	v_cvt_f64_f32_e32 v[4:5], v3
	v_mul_f64 v[4:5], v[4:5], s[0:1]
	v_mad_u64_u32 v[0:1], s[0:1], s4, v8, v[0:1]
	v_cvt_f32_f64_e32 v3, v[4:5]
	v_add_u32_e32 v1, s2, v1
	global_store_dwordx2 v[0:1], v[2:3], off
.LBB0_10:
	s_endpgm
	.section	.rodata,"a",@progbits
	.p2align	6, 0x0
	.amdhsa_kernel bluestein_single_back_len595_dim1_sp_op_CI_CI
		.amdhsa_group_segment_fixed_size 14280
		.amdhsa_private_segment_fixed_size 280
		.amdhsa_kernarg_size 104
		.amdhsa_user_sgpr_count 6
		.amdhsa_user_sgpr_private_segment_buffer 1
		.amdhsa_user_sgpr_dispatch_ptr 0
		.amdhsa_user_sgpr_queue_ptr 0
		.amdhsa_user_sgpr_kernarg_segment_ptr 1
		.amdhsa_user_sgpr_dispatch_id 0
		.amdhsa_user_sgpr_flat_scratch_init 0
		.amdhsa_user_sgpr_kernarg_preload_length 0
		.amdhsa_user_sgpr_kernarg_preload_offset 0
		.amdhsa_user_sgpr_private_segment_size 0
		.amdhsa_uses_dynamic_stack 0
		.amdhsa_system_sgpr_private_segment_wavefront_offset 1
		.amdhsa_system_sgpr_workgroup_id_x 1
		.amdhsa_system_sgpr_workgroup_id_y 0
		.amdhsa_system_sgpr_workgroup_id_z 0
		.amdhsa_system_sgpr_workgroup_info 0
		.amdhsa_system_vgpr_workitem_id 0
		.amdhsa_next_free_vgpr 512
		.amdhsa_next_free_sgpr 80
		.amdhsa_accum_offset 256
		.amdhsa_reserve_vcc 1
		.amdhsa_reserve_flat_scratch 0
		.amdhsa_float_round_mode_32 0
		.amdhsa_float_round_mode_16_64 0
		.amdhsa_float_denorm_mode_32 3
		.amdhsa_float_denorm_mode_16_64 3
		.amdhsa_dx10_clamp 1
		.amdhsa_ieee_mode 1
		.amdhsa_fp16_overflow 0
		.amdhsa_tg_split 0
		.amdhsa_exception_fp_ieee_invalid_op 0
		.amdhsa_exception_fp_denorm_src 0
		.amdhsa_exception_fp_ieee_div_zero 0
		.amdhsa_exception_fp_ieee_overflow 0
		.amdhsa_exception_fp_ieee_underflow 0
		.amdhsa_exception_fp_ieee_inexact 0
		.amdhsa_exception_int_div_zero 0
	.end_amdhsa_kernel
	.text
.Lfunc_end0:
	.size	bluestein_single_back_len595_dim1_sp_op_CI_CI, .Lfunc_end0-bluestein_single_back_len595_dim1_sp_op_CI_CI
                                        ; -- End function
	.section	.AMDGPU.csdata,"",@progbits
; Kernel info:
; codeLenInByte = 57348
; NumSgprs: 84
; NumVgprs: 256
; NumAgprs: 256
; TotalNumVgprs: 512
; ScratchSize: 280
; MemoryBound: 0
; FloatMode: 240
; IeeeMode: 1
; LDSByteSize: 14280 bytes/workgroup (compile time only)
; SGPRBlocks: 10
; VGPRBlocks: 63
; NumSGPRsForWavesPerEU: 84
; NumVGPRsForWavesPerEU: 512
; AccumOffset: 256
; Occupancy: 1
; WaveLimiterHint : 1
; COMPUTE_PGM_RSRC2:SCRATCH_EN: 1
; COMPUTE_PGM_RSRC2:USER_SGPR: 6
; COMPUTE_PGM_RSRC2:TRAP_HANDLER: 0
; COMPUTE_PGM_RSRC2:TGID_X_EN: 1
; COMPUTE_PGM_RSRC2:TGID_Y_EN: 0
; COMPUTE_PGM_RSRC2:TGID_Z_EN: 0
; COMPUTE_PGM_RSRC2:TIDIG_COMP_CNT: 0
; COMPUTE_PGM_RSRC3_GFX90A:ACCUM_OFFSET: 63
; COMPUTE_PGM_RSRC3_GFX90A:TG_SPLIT: 0
	.text
	.p2alignl 6, 3212836864
	.fill 256, 4, 3212836864
	.type	__hip_cuid_dd4bc6f9fd8c84c2,@object ; @__hip_cuid_dd4bc6f9fd8c84c2
	.section	.bss,"aw",@nobits
	.globl	__hip_cuid_dd4bc6f9fd8c84c2
__hip_cuid_dd4bc6f9fd8c84c2:
	.byte	0                               ; 0x0
	.size	__hip_cuid_dd4bc6f9fd8c84c2, 1

	.ident	"AMD clang version 19.0.0git (https://github.com/RadeonOpenCompute/llvm-project roc-6.4.0 25133 c7fe45cf4b819c5991fe208aaa96edf142730f1d)"
	.section	".note.GNU-stack","",@progbits
	.addrsig
	.addrsig_sym __hip_cuid_dd4bc6f9fd8c84c2
	.amdgpu_metadata
---
amdhsa.kernels:
  - .agpr_count:     256
    .args:
      - .actual_access:  read_only
        .address_space:  global
        .offset:         0
        .size:           8
        .value_kind:     global_buffer
      - .actual_access:  read_only
        .address_space:  global
        .offset:         8
        .size:           8
        .value_kind:     global_buffer
      - .actual_access:  read_only
        .address_space:  global
        .offset:         16
        .size:           8
        .value_kind:     global_buffer
      - .actual_access:  read_only
        .address_space:  global
        .offset:         24
        .size:           8
        .value_kind:     global_buffer
      - .actual_access:  read_only
        .address_space:  global
        .offset:         32
        .size:           8
        .value_kind:     global_buffer
      - .offset:         40
        .size:           8
        .value_kind:     by_value
      - .address_space:  global
        .offset:         48
        .size:           8
        .value_kind:     global_buffer
      - .address_space:  global
        .offset:         56
        .size:           8
        .value_kind:     global_buffer
      - .address_space:  global
        .offset:         64
        .size:           8
        .value_kind:     global_buffer
      - .address_space:  global
        .offset:         72
        .size:           8
        .value_kind:     global_buffer
      - .offset:         80
        .size:           4
        .value_kind:     by_value
      - .address_space:  global
        .offset:         88
        .size:           8
        .value_kind:     global_buffer
      - .address_space:  global
        .offset:         96
        .size:           8
        .value_kind:     global_buffer
    .group_segment_fixed_size: 14280
    .kernarg_segment_align: 8
    .kernarg_segment_size: 104
    .language:       OpenCL C
    .language_version:
      - 2
      - 0
    .max_flat_workgroup_size: 51
    .name:           bluestein_single_back_len595_dim1_sp_op_CI_CI
    .private_segment_fixed_size: 280
    .sgpr_count:     84
    .sgpr_spill_count: 0
    .symbol:         bluestein_single_back_len595_dim1_sp_op_CI_CI.kd
    .uniform_work_group_size: 1
    .uses_dynamic_stack: false
    .vgpr_count:     512
    .vgpr_spill_count: 69
    .wavefront_size: 64
amdhsa.target:   amdgcn-amd-amdhsa--gfx90a
amdhsa.version:
  - 1
  - 2
...

	.end_amdgpu_metadata
